;; amdgpu-corpus repo=ROCm/rocFFT kind=compiled arch=gfx1030 opt=O3
	.text
	.amdgcn_target "amdgcn-amd-amdhsa--gfx1030"
	.amdhsa_code_object_version 6
	.protected	bluestein_single_fwd_len702_dim1_half_op_CI_CI ; -- Begin function bluestein_single_fwd_len702_dim1_half_op_CI_CI
	.globl	bluestein_single_fwd_len702_dim1_half_op_CI_CI
	.p2align	8
	.type	bluestein_single_fwd_len702_dim1_half_op_CI_CI,@function
bluestein_single_fwd_len702_dim1_half_op_CI_CI: ; @bluestein_single_fwd_len702_dim1_half_op_CI_CI
; %bb.0:
	s_load_dwordx4 s[0:3], s[4:5], 0x28
	v_mul_u32_u24_e32 v1, 0x231, v0
	v_mov_b32_e32 v5, 0
	v_lshrrev_b32_e32 v1, 16, v1
	v_add_nc_u32_e32 v4, s6, v1
	s_waitcnt lgkmcnt(0)
	v_cmp_gt_u64_e32 vcc_lo, s[0:1], v[4:5]
	s_and_saveexec_b32 s0, vcc_lo
	s_cbranch_execz .LBB0_15
; %bb.1:
	s_clause 0x1
	s_load_dwordx2 s[10:11], s[4:5], 0x0
	s_load_dwordx2 s[8:9], s[4:5], 0x38
	v_mul_lo_u16 v1, 0x75, v1
	v_sub_nc_u16 v0, v0, v1
	v_and_b32_e32 v26, 0xffff, v0
	v_cmp_gt_u16_e32 vcc_lo, 54, v0
	v_lshlrev_b32_e32 v25, 2, v26
	s_and_saveexec_b32 s1, vcc_lo
	s_cbranch_execz .LBB0_3
; %bb.2:
	s_load_dwordx2 s[6:7], s[4:5], 0x18
	v_add_nc_u32_e32 v34, 0x400, v25
	s_waitcnt lgkmcnt(0)
	s_load_dwordx4 s[12:15], s[6:7], 0x0
	s_waitcnt lgkmcnt(0)
	v_mad_u64_u32 v[0:1], null, s14, v4, 0
	v_mad_u64_u32 v[2:3], null, s12, v26, 0
	s_mul_i32 s6, s13, 0xd8
	s_mul_hi_u32 s7, s12, 0xd8
	s_add_i32 s7, s7, s6
	v_mad_u64_u32 v[5:6], null, s15, v4, v[1:2]
	v_mad_u64_u32 v[6:7], null, s13, v26, v[3:4]
	v_add_co_u32 v7, s0, s10, v25
	v_add_co_ci_u32_e64 v8, null, s11, 0, s0
	v_mov_b32_e32 v1, v5
	v_mov_b32_e32 v3, v6
	v_lshlrev_b64 v[0:1], 2, v[0:1]
	v_lshlrev_b64 v[2:3], 2, v[2:3]
	v_add_co_u32 v0, s0, s2, v0
	v_add_co_ci_u32_e64 v1, s0, s3, v1, s0
	s_mul_i32 s2, s12, 0xd8
	v_add_co_u32 v0, s0, v0, v2
	v_add_co_ci_u32_e64 v1, s0, v1, v3, s0
	v_add_co_u32 v2, s0, v0, s2
	v_add_co_ci_u32_e64 v3, s0, s7, v1, s0
	global_load_dword v9, v[0:1], off
	v_add_co_u32 v0, s0, v2, s2
	v_add_co_ci_u32_e64 v1, s0, s7, v3, s0
	s_clause 0x1
	global_load_dword v10, v25, s[10:11]
	global_load_dword v11, v25, s[10:11] offset:216
	v_add_co_u32 v5, s0, v0, s2
	s_clause 0x1
	global_load_dword v12, v[2:3], off
	global_load_dword v13, v[0:1], off
	v_add_co_ci_u32_e64 v6, s0, s7, v1, s0
	v_add_co_u32 v0, s0, v5, s2
	s_clause 0x1
	global_load_dword v14, v25, s[10:11] offset:432
	global_load_dword v15, v25, s[10:11] offset:648
	v_add_co_ci_u32_e64 v1, s0, s7, v6, s0
	s_clause 0x1
	global_load_dword v16, v[5:6], off
	global_load_dword v17, v[0:1], off
	v_add_co_u32 v2, s0, v0, s2
	v_add_co_ci_u32_e64 v3, s0, s7, v1, s0
	v_add_co_u32 v0, s0, v2, s2
	v_add_co_ci_u32_e64 v1, s0, s7, v3, s0
	s_clause 0x5
	global_load_dword v18, v25, s[10:11] offset:864
	global_load_dword v19, v25, s[10:11] offset:1080
	;; [unrolled: 1-line block ×6, first 2 shown]
	global_load_dword v24, v[2:3], off
	global_load_dword v27, v[0:1], off
	v_add_co_u32 v0, s0, v0, s2
	v_add_co_ci_u32_e64 v1, s0, s7, v1, s0
	v_add_co_u32 v2, s0, 0x800, v7
	v_add_co_ci_u32_e64 v3, s0, 0, v8, s0
	v_add_co_u32 v5, s0, v0, s2
	v_add_co_ci_u32_e64 v6, s0, s7, v1, s0
	global_load_dword v7, v[0:1], off
	v_add_co_u32 v0, s0, v5, s2
	v_add_co_ci_u32_e64 v1, s0, s7, v6, s0
	global_load_dword v8, v[5:6], off
	v_add_co_u32 v5, s0, v0, s2
	v_add_co_ci_u32_e64 v6, s0, s7, v1, s0
	global_load_dword v28, v[0:1], off
	v_add_co_u32 v0, s0, v5, s2
	v_add_co_ci_u32_e64 v1, s0, s7, v6, s0
	global_load_dword v29, v[5:6], off
	v_add_co_u32 v5, s0, v0, s2
	v_add_co_ci_u32_e64 v6, s0, s7, v1, s0
	global_load_dword v30, v[2:3], off offset:112
	global_load_dword v0, v[0:1], off
	global_load_dword v1, v[5:6], off
	s_clause 0x1
	global_load_dword v5, v[2:3], off offset:328
	global_load_dword v2, v[2:3], off offset:544
	v_add_nc_u32_e32 v6, 0x200, v25
	s_waitcnt vmcnt(25)
	v_lshrrev_b32_e32 v3, 16, v9
	s_waitcnt vmcnt(24)
	v_mul_f16_sdwa v31, v10, v9 dst_sel:DWORD dst_unused:UNUSED_PAD src0_sel:WORD_1 src1_sel:DWORD
	v_mul_f16_sdwa v32, v10, v3 dst_sel:DWORD dst_unused:UNUSED_PAD src0_sel:WORD_1 src1_sel:DWORD
	s_waitcnt vmcnt(22)
	v_lshrrev_b32_e32 v33, 16, v12
	v_mul_f16_sdwa v35, v11, v12 dst_sel:DWORD dst_unused:UNUSED_PAD src0_sel:WORD_1 src1_sel:DWORD
	v_fma_f16 v3, v10, v3, -v31
	v_fmac_f16_e32 v32, v10, v9
	s_waitcnt vmcnt(21)
	v_lshrrev_b32_e32 v10, 16, v13
	v_mul_f16_sdwa v9, v11, v33 dst_sel:DWORD dst_unused:UNUSED_PAD src0_sel:WORD_1 src1_sel:DWORD
	v_fma_f16 v31, v11, v33, -v35
	s_waitcnt vmcnt(20)
	v_mul_f16_sdwa v33, v14, v13 dst_sel:DWORD dst_unused:UNUSED_PAD src0_sel:WORD_1 src1_sel:DWORD
	v_pack_b32_f16 v3, v32, v3
	v_fmac_f16_e32 v9, v11, v12
	v_mul_f16_sdwa v11, v14, v10 dst_sel:DWORD dst_unused:UNUSED_PAD src0_sel:WORD_1 src1_sel:DWORD
	s_waitcnt vmcnt(18)
	v_lshrrev_b32_e32 v12, 16, v16
	v_mul_f16_sdwa v32, v15, v16 dst_sel:DWORD dst_unused:UNUSED_PAD src0_sel:WORD_1 src1_sel:DWORD
	v_fma_f16 v10, v14, v10, -v33
	v_pack_b32_f16 v9, v9, v31
	v_fmac_f16_e32 v11, v14, v13
	v_mul_f16_sdwa v13, v15, v12 dst_sel:DWORD dst_unused:UNUSED_PAD src0_sel:WORD_1 src1_sel:DWORD
	v_fma_f16 v12, v15, v12, -v32
	s_waitcnt vmcnt(17)
	v_lshrrev_b32_e32 v14, 16, v17
	ds_write2_b32 v25, v3, v9 offset1:54
	v_pack_b32_f16 v3, v11, v10
	v_fmac_f16_e32 v13, v15, v16
	s_waitcnt vmcnt(10)
	v_lshrrev_b32_e32 v10, 16, v24
	v_mul_f16_sdwa v31, v18, v17 dst_sel:DWORD dst_unused:UNUSED_PAD src0_sel:WORD_1 src1_sel:DWORD
	v_mul_f16_sdwa v9, v18, v14 dst_sel:DWORD dst_unused:UNUSED_PAD src0_sel:WORD_1 src1_sel:DWORD
	;; [unrolled: 1-line block ×3, first 2 shown]
	v_pack_b32_f16 v12, v13, v12
	v_mul_f16_sdwa v13, v19, v10 dst_sel:DWORD dst_unused:UNUSED_PAD src0_sel:WORD_1 src1_sel:DWORD
	v_fma_f16 v14, v18, v14, -v31
	v_fmac_f16_e32 v9, v18, v17
	v_fma_f16 v10, v19, v10, -v11
	s_waitcnt vmcnt(9)
	v_lshrrev_b32_e32 v11, 16, v27
	v_mul_f16_sdwa v15, v20, v27 dst_sel:DWORD dst_unused:UNUSED_PAD src0_sel:WORD_1 src1_sel:DWORD
	ds_write2_b32 v25, v3, v12 offset0:108 offset1:162
	v_fmac_f16_e32 v13, v19, v24
	s_waitcnt vmcnt(8)
	v_lshrrev_b32_e32 v12, 16, v7
	v_pack_b32_f16 v3, v9, v14
	v_mul_f16_sdwa v9, v20, v11 dst_sel:DWORD dst_unused:UNUSED_PAD src0_sel:WORD_1 src1_sel:DWORD
	v_fma_f16 v11, v20, v11, -v15
	v_mul_f16_sdwa v14, v21, v7 dst_sel:DWORD dst_unused:UNUSED_PAD src0_sel:WORD_1 src1_sel:DWORD
	v_pack_b32_f16 v10, v13, v10
	v_mul_f16_sdwa v13, v21, v12 dst_sel:DWORD dst_unused:UNUSED_PAD src0_sel:WORD_1 src1_sel:DWORD
	s_waitcnt vmcnt(7)
	v_lshrrev_b32_e32 v15, 16, v8
	v_fmac_f16_e32 v9, v20, v27
	v_fma_f16 v12, v21, v12, -v14
	v_mul_f16_sdwa v14, v22, v8 dst_sel:DWORD dst_unused:UNUSED_PAD src0_sel:WORD_1 src1_sel:DWORD
	v_fmac_f16_e32 v13, v21, v7
	v_mul_f16_sdwa v7, v22, v15 dst_sel:DWORD dst_unused:UNUSED_PAD src0_sel:WORD_1 src1_sel:DWORD
	v_pack_b32_f16 v9, v9, v11
	s_waitcnt vmcnt(6)
	v_lshrrev_b32_e32 v11, 16, v28
	v_fma_f16 v14, v22, v15, -v14
	v_mul_f16_sdwa v16, v23, v28 dst_sel:DWORD dst_unused:UNUSED_PAD src0_sel:WORD_1 src1_sel:DWORD
	v_fmac_f16_e32 v7, v22, v8
	v_pack_b32_f16 v12, v13, v12
	s_waitcnt vmcnt(5)
	v_lshrrev_b32_e32 v13, 16, v29
	s_waitcnt vmcnt(4)
	v_mul_f16_sdwa v15, v30, v29 dst_sel:DWORD dst_unused:UNUSED_PAD src0_sel:WORD_1 src1_sel:DWORD
	v_mul_f16_sdwa v8, v23, v11 dst_sel:DWORD dst_unused:UNUSED_PAD src0_sel:WORD_1 src1_sel:DWORD
	v_pack_b32_f16 v7, v7, v14
	s_waitcnt vmcnt(3)
	v_lshrrev_b32_e32 v14, 16, v0
	v_fma_f16 v11, v23, v11, -v16
	s_waitcnt vmcnt(2)
	v_lshrrev_b32_e32 v16, 16, v1
	v_mul_f16_sdwa v17, v30, v13 dst_sel:DWORD dst_unused:UNUSED_PAD src0_sel:WORD_1 src1_sel:DWORD
	v_fma_f16 v13, v30, v13, -v15
	s_waitcnt vmcnt(1)
	v_mul_f16_sdwa v15, v5, v0 dst_sel:DWORD dst_unused:UNUSED_PAD src0_sel:WORD_1 src1_sel:DWORD
	v_mul_f16_sdwa v18, v5, v14 dst_sel:DWORD dst_unused:UNUSED_PAD src0_sel:WORD_1 src1_sel:DWORD
	s_waitcnt vmcnt(0)
	v_mul_f16_sdwa v19, v2, v16 dst_sel:DWORD dst_unused:UNUSED_PAD src0_sel:WORD_1 src1_sel:DWORD
	v_mul_f16_sdwa v20, v2, v1 dst_sel:DWORD dst_unused:UNUSED_PAD src0_sel:WORD_1 src1_sel:DWORD
	v_fmac_f16_e32 v8, v23, v28
	v_fmac_f16_e32 v17, v30, v29
	v_fma_f16 v14, v5, v14, -v15
	v_fmac_f16_e32 v18, v5, v0
	v_fmac_f16_e32 v19, v2, v1
	v_fma_f16 v0, v2, v16, -v20
	v_pack_b32_f16 v1, v8, v11
	v_pack_b32_f16 v2, v17, v13
	;; [unrolled: 1-line block ×3, first 2 shown]
	v_add_nc_u32_e32 v8, 0x800, v25
	v_pack_b32_f16 v0, v19, v0
	ds_write2_b32 v6, v3, v10 offset0:88 offset1:142
	ds_write2_b32 v34, v9, v12 offset0:68 offset1:122
	;; [unrolled: 1-line block ×4, first 2 shown]
	ds_write_b32 v25, v0 offset:2592
.LBB0_3:
	s_or_b32 exec_lo, exec_lo, s1
	s_clause 0x1
	s_load_dwordx2 s[2:3], s[4:5], 0x20
	s_load_dwordx2 s[0:1], s[4:5], 0x8
	v_mov_b32_e32 v0, 0
	s_waitcnt lgkmcnt(0)
	s_barrier
	buffer_gl0_inv
                                        ; implicit-def: $vgpr12
                                        ; implicit-def: $vgpr9
                                        ; implicit-def: $vgpr14
                                        ; implicit-def: $vgpr2
                                        ; implicit-def: $vgpr16
                                        ; implicit-def: $vgpr17
                                        ; kill: def $vgpr1 killed $sgpr0 killed $exec
	s_and_saveexec_b32 s4, vcc_lo
	s_cbranch_execz .LBB0_5
; %bb.4:
	v_add_nc_u32_e32 v2, 0x200, v25
	v_add_nc_u32_e32 v3, 0x400, v25
	;; [unrolled: 1-line block ×3, first 2 shown]
	ds_read2_b32 v[0:1], v25 offset1:54
	ds_read2_b32 v[15:16], v25 offset0:108 offset1:162
	ds_read2_b32 v[13:14], v2 offset0:88 offset1:142
	;; [unrolled: 1-line block ×5, first 2 shown]
	ds_read_b32 v17, v25 offset:2592
.LBB0_5:
	s_or_b32 exec_lo, exec_lo, s4
	s_waitcnt lgkmcnt(0)
	v_pk_add_f16 v23, v1, v17 neg_lo:[0,1] neg_hi:[0,1]
	v_mov_b32_e32 v7, 0xba95
	v_mov_b32_e32 v28, 0xbbf1
	;; [unrolled: 1-line block ×3, first 2 shown]
	v_pk_add_f16 v24, v17, v1
	v_pk_add_f16 v31, v15, v3 neg_lo:[0,1] neg_hi:[0,1]
	v_mul_f16_sdwa v18, v23, v7 dst_sel:DWORD dst_unused:UNUSED_PAD src0_sel:WORD_1 src1_sel:DWORD
	v_mul_f16_sdwa v22, v23, v28 dst_sel:DWORD dst_unused:UNUSED_PAD src0_sel:WORD_1 src1_sel:DWORD
	v_mov_b32_e32 v32, 0xb3a8
	v_pk_add_f16 v43, v3, v15
	v_mul_f16_sdwa v19, v31, v29 dst_sel:DWORD dst_unused:UNUSED_PAD src0_sel:WORD_1 src1_sel:DWORD
	v_fmamk_f16 v5, v24, 0x388b, v18
	v_pk_add_f16 v60, v16, v2 neg_lo:[0,1] neg_hi:[0,1]
	v_fmamk_f16 v6, v24, 0x2fb7, v22
	v_mov_b32_e32 v20, 0x394e
	v_mul_f16_sdwa v27, v31, v32 dst_sel:DWORD dst_unused:UNUSED_PAD src0_sel:WORD_1 src1_sel:DWORD
	v_fmamk_f16 v35, v43, 0xb5ac, v19
	v_mov_b32_e32 v38, 0x3b7b
	v_pk_add_f16 v44, v2, v16
	v_pk_add_f16 v61, v13, v10 neg_lo:[0,1] neg_hi:[0,1]
	v_mul_f16_sdwa v21, v60, v32 dst_sel:DWORD dst_unused:UNUSED_PAD src0_sel:WORD_1 src1_sel:DWORD
	v_add_f16_e32 v5, v5, v0
	v_mul_f16_sdwa v40, v31, v20 dst_sel:DWORD dst_unused:UNUSED_PAD src0_sel:WORD_1 src1_sel:DWORD
	v_mov_b32_e32 v33, 0x3bf1
	v_fmamk_f16 v37, v43, 0xbbc4, v27
	v_mov_b32_e32 v52, 0x3770
	v_mul_f16_sdwa v39, v60, v38 dst_sel:DWORD dst_unused:UNUSED_PAD src0_sel:WORD_1 src1_sel:DWORD
	v_pk_add_f16 v45, v10, v13
	v_mul_f16_sdwa v20, v61, v20 dst_sel:DWORD dst_unused:UNUSED_PAD src0_sel:WORD_1 src1_sel:DWORD
	v_fmamk_f16 v49, v44, 0xbbc4, v21
	v_pk_add_f16 v64, v14, v9 neg_lo:[0,1] neg_hi:[0,1]
	v_add_f16_e32 v6, v6, v0
	v_add_f16_e32 v5, v35, v5
	v_mov_b32_e32 v30, 0xb94e
	v_fmamk_f16 v53, v44, 0xb5ac, v39
	v_fmamk_f16 v56, v45, 0xb9fd, v20
	v_mul_f16_sdwa v41, v61, v52 dst_sel:DWORD dst_unused:UNUSED_PAD src0_sel:WORD_1 src1_sel:DWORD
	v_pk_add_f16 v51, v9, v14
	v_mul_f16_sdwa v38, v64, v33 dst_sel:DWORD dst_unused:UNUSED_PAD src0_sel:WORD_1 src1_sel:DWORD
	v_add_f16_e32 v6, v37, v6
	v_pk_add_f16 v105, v11, v12 neg_lo:[0,1] neg_hi:[0,1]
	v_add_f16_e32 v5, v49, v5
	v_mul_f16_sdwa v36, v23, v29 dst_sel:DWORD dst_unused:UNUSED_PAD src0_sel:WORD_1 src1_sel:DWORD
	v_mul_f16_sdwa v46, v23, v30 dst_sel:DWORD dst_unused:UNUSED_PAD src0_sel:WORD_1 src1_sel:DWORD
	;; [unrolled: 1-line block ×3, first 2 shown]
	v_fmamk_f16 v33, v45, 0x3b15, v41
	v_mul_f16_sdwa v47, v64, v7 dst_sel:DWORD dst_unused:UNUSED_PAD src0_sel:WORD_1 src1_sel:DWORD
	v_fmamk_f16 v35, v51, 0x2fb7, v38
	v_add_f16_e32 v6, v53, v6
	v_pk_add_f16 v53, v12, v11
	v_mul_f16_sdwa v37, v105, v52 dst_sel:DWORD dst_unused:UNUSED_PAD src0_sel:WORD_1 src1_sel:DWORD
	v_add_f16_e32 v5, v56, v5
	v_fmamk_f16 v8, v24, 0xb5ac, v36
	v_fmamk_f16 v34, v24, 0xb9fd, v46
	v_fmamk_f16 v57, v51, 0x388b, v47
	v_add_f16_e32 v6, v33, v6
	v_fmamk_f16 v33, v53, 0x3b15, v37
	v_add_f16_e32 v5, v35, v5
	v_fmamk_f16 v50, v43, 0xb9fd, v40
	v_mul_f16_sdwa v42, v60, v52 dst_sel:DWORD dst_unused:UNUSED_PAD src0_sel:WORD_1 src1_sel:DWORD
	v_fmamk_f16 v54, v43, 0x2fb7, v48
	v_mul_f16_sdwa v62, v60, v7 dst_sel:DWORD dst_unused:UNUSED_PAD src0_sel:WORD_1 src1_sel:DWORD
	v_add_f16_e32 v58, v57, v6
	v_add_f16_e32 v8, v8, v0
	;; [unrolled: 1-line block ×4, first 2 shown]
	v_mov_b32_e32 v5, 0x33a8
	v_fmamk_f16 v55, v44, 0x3b15, v42
	v_mul_f16_sdwa v57, v61, v28 dst_sel:DWORD dst_unused:UNUSED_PAD src0_sel:WORD_1 src1_sel:DWORD
	v_fmamk_f16 v33, v44, 0x388b, v62
	v_add_f16_e32 v8, v50, v8
	v_add_f16_e32 v34, v54, v34
	v_mul_f16_sdwa v67, v61, v5 dst_sel:DWORD dst_unused:UNUSED_PAD src0_sel:WORD_1 src1_sel:DWORD
	v_mul_f16_sdwa v49, v105, v30 dst_sel:DWORD dst_unused:UNUSED_PAD src0_sel:WORD_1 src1_sel:DWORD
	v_fmamk_f16 v50, v45, 0x2fb7, v57
	v_mul_f16_sdwa v56, v64, v5 dst_sel:DWORD dst_unused:UNUSED_PAD src0_sel:WORD_1 src1_sel:DWORD
	v_add_f16_e32 v5, v55, v8
	v_mov_b32_e32 v8, 0x3a95
	v_add_f16_e32 v33, v33, v34
	v_fmamk_f16 v34, v45, 0xbbc4, v67
	v_fmamk_f16 v35, v53, 0xb9fd, v49
	v_mul_f16_sdwa v66, v64, v52 dst_sel:DWORD dst_unused:UNUSED_PAD src0_sel:WORD_1 src1_sel:DWORD
	v_add_f16_e32 v50, v50, v5
	v_fmamk_f16 v52, v51, 0xbbc4, v56
	v_mul_f16_sdwa v54, v105, v8 dst_sel:DWORD dst_unused:UNUSED_PAD src0_sel:WORD_1 src1_sel:DWORD
	v_add_f16_e32 v8, v34, v33
	v_mov_b32_e32 v34, 0xb770
	v_fmamk_f16 v33, v51, 0x3b15, v66
	v_add_f16_e32 v5, v35, v58
	v_add_f16_e32 v35, v52, v50
	v_fmamk_f16 v52, v53, 0x388b, v54
	v_mul_f16_sdwa v50, v23, v34 dst_sel:DWORD dst_unused:UNUSED_PAD src0_sel:WORD_1 src1_sel:DWORD
	v_lshrrev_b32_e32 v85, 16, v24
	v_mul_f16_e32 v58, 0xba95, v23
	v_add_f16_e32 v33, v33, v8
	v_mul_f16_sdwa v71, v105, v29 dst_sel:DWORD dst_unused:UNUSED_PAD src0_sel:WORD_1 src1_sel:DWORD
	v_add_f16_e32 v8, v52, v35
	v_fmamk_f16 v35, v24, 0x3b15, v50
	v_mul_f16_sdwa v52, v31, v7 dst_sel:DWORD dst_unused:UNUSED_PAD src0_sel:WORD_1 src1_sel:DWORD
	v_fma_f16 v7, v85, 0x388b, -v58
	v_lshrrev_b32_e32 v81, 16, v43
	v_mul_f16_e32 v59, 0xbb7b, v31
	v_fmamk_f16 v34, v53, 0xb5ac, v71
	v_add_f16_e32 v35, v35, v0
	v_mul_f16_e32 v65, 0xbbf1, v23
	v_fmamk_f16 v55, v43, 0x388b, v52
	v_add_f16_sdwa v63, v7, v0 dst_sel:DWORD dst_unused:UNUSED_PAD src0_sel:DWORD src1_sel:WORD_1
	v_fma_f16 v68, v81, 0xb5ac, -v59
	v_mul_f16_e32 v84, 0xbb7b, v23
	v_mul_f16_e32 v97, 0xb94e, v23
	v_add_f16_e32 v7, v34, v33
	v_fma_f16 v33, v85, 0x2fb7, -v65
	v_add_f16_e32 v34, v55, v35
	v_add_f16_e32 v35, v68, v63
	v_mul_f16_e32 v69, 0xb3a8, v31
	v_fma_f16 v55, v85, 0xb5ac, -v84
	v_mul_f16_e32 v86, 0x394e, v31
	v_fma_f16 v63, v85, 0xb9fd, -v97
	v_mul_f16_e32 v96, 0x3bf1, v31
	v_add_f16_sdwa v33, v33, v0 dst_sel:DWORD dst_unused:UNUSED_PAD src0_sel:DWORD src1_sel:WORD_1
	v_fma_f16 v68, v81, 0xbbc4, -v69
	v_add_f16_sdwa v55, v55, v0 dst_sel:DWORD dst_unused:UNUSED_PAD src0_sel:DWORD src1_sel:WORD_1
	v_fma_f16 v70, v81, 0xb9fd, -v86
	v_add_f16_sdwa v63, v63, v0 dst_sel:DWORD dst_unused:UNUSED_PAD src0_sel:DWORD src1_sel:WORD_1
	v_fma_f16 v73, v81, 0x2fb7, -v96
	v_pk_mul_f16 v72, 0xb3a8b770, v23
	v_mul_f16_e32 v23, 0xb3a8, v23
	v_add_f16_e32 v33, v68, v33
	v_add_f16_e32 v68, v70, v55
	v_add_f16_e32 v70, v73, v63
	v_pk_fma_f16 v63, 0x3b15bbc4, v24, v72 op_sel:[0,0,1] op_sel_hi:[1,1,0] neg_lo:[0,0,1] neg_hi:[0,0,1]
	v_pk_mul_f16 v74, 0x3770ba95, v31
	v_fma_f16 v73, v85, 0xbbc4, -v23
	v_mul_f16_e32 v31, 0x3770, v31
	v_mul_f16_sdwa v55, v60, v28 dst_sel:DWORD dst_unused:UNUSED_PAD src0_sel:WORD_1 src1_sel:DWORD
	v_pk_add_f16 v28, v63, v0
	v_pk_fma_f16 v75, 0x388b3b15, v43, v74 op_sel:[0,0,1] op_sel_hi:[1,1,0] neg_lo:[0,0,1] neg_hi:[0,0,1]
	v_add_f16_sdwa v76, v73, v0 dst_sel:DWORD dst_unused:UNUSED_PAD src0_sel:DWORD src1_sel:WORD_1
	v_fma_f16 v77, v81, 0x3b15, -v31
	v_lshrrev_b32_e32 v89, 16, v44
	v_mul_f16_e32 v63, 0xb3a8, v60
	v_mul_f16_e32 v73, 0x3b7b, v60
	v_pk_add_f16 v28, v75, v28
	v_add_f16_e32 v75, v77, v76
	v_mul_f16_e32 v90, 0x3770, v60
	v_fma_f16 v76, v89, 0xbbc4, -v63
	v_fma_f16 v77, v89, 0xb5ac, -v73
	v_mul_f16_e32 v100, 0xba95, v60
	v_fmamk_f16 v78, v44, 0x2fb7, v55
	v_pk_mul_f16 v82, 0xb94ebbf1, v60
	v_add_f16_e32 v35, v76, v35
	v_add_f16_e32 v33, v77, v33
	v_fma_f16 v76, v89, 0x3b15, -v90
	v_fma_f16 v77, v89, 0x388b, -v100
	v_mul_f16_e32 v79, 0xb94e, v60
	v_mul_f16_sdwa v60, v61, v29 dst_sel:DWORD dst_unused:UNUSED_PAD src0_sel:WORD_1 src1_sel:DWORD
	v_add_f16_e32 v34, v78, v34
	v_add_f16_e32 v29, v76, v68
	;; [unrolled: 1-line block ×3, first 2 shown]
	v_lshrrev_b32_e32 v91, 16, v45
	v_fmamk_f16 v77, v45, 0xb5ac, v60
	v_mul_f16_e32 v80, 0x3770, v61
	v_mul_f16_e32 v102, 0x33a8, v61
	v_pk_fma_f16 v78, 0x2fb7b9fd, v44, v82 op_sel:[0,0,1] op_sel_hi:[1,1,0] neg_lo:[0,0,1] neg_hi:[0,0,1]
	v_fma_f16 v68, v89, 0xb9fd, -v79
	v_add_f16_e32 v34, v77, v34
	v_fma_f16 v77, v91, 0x3b15, -v80
	v_mul_f16_e32 v70, 0x394e, v61
	v_mul_f16_e32 v93, 0xbbf1, v61
	v_pk_mul_f16 v88, 0x3a95bb7b, v61
	v_mul_f16_e32 v83, 0x3a95, v61
	v_add_f16_e32 v33, v77, v33
	v_fma_f16 v77, v91, 0xbbc4, -v102
	v_mul_f16_sdwa v61, v64, v30 dst_sel:DWORD dst_unused:UNUSED_PAD src0_sel:WORD_1 src1_sel:DWORD
	v_pk_add_f16 v28, v78, v28
	v_add_f16_e32 v75, v68, v75
	v_fma_f16 v68, v91, 0xb9fd, -v70
	v_fma_f16 v78, v91, 0x2fb7, -v93
	v_lshrrev_b32_e32 v94, 16, v51
	v_add_f16_e32 v30, v77, v76
	v_fmamk_f16 v77, v51, 0xb9fd, v61
	v_mul_f16_e32 v98, 0x33a8, v64
	v_add_f16_e32 v35, v68, v35
	v_add_f16_e32 v29, v78, v29
	v_pk_fma_f16 v78, 0xb5ac388b, v45, v88 op_sel:[0,0,1] op_sel_hi:[1,1,0] neg_lo:[0,0,1] neg_hi:[0,0,1]
	v_mul_f16_e32 v68, 0x3bf1, v64
	v_fma_f16 v76, v91, 0x388b, -v83
	v_mul_f16_e32 v87, 0xba95, v64
	v_add_f16_e32 v34, v77, v34
	v_fma_f16 v77, v94, 0xbbc4, -v98
	v_mul_f16_e32 v104, 0x3770, v64
	v_mul_f16_e32 v103, 0xbb7b, v64
	v_pk_add_f16 v28, v78, v28
	v_fma_f16 v78, v94, 0x2fb7, -v68
	v_add_f16_e32 v75, v76, v75
	v_fma_f16 v76, v94, 0x388b, -v87
	v_pk_mul_f16 v92, 0xbb7bb94e, v64
	v_add_f16_e32 v106, v77, v29
	v_fma_f16 v29, v94, 0x3b15, -v104
	v_fma_f16 v77, v94, 0xb5ac, -v103
	v_mul_f16_sdwa v64, v105, v32 dst_sel:DWORD dst_unused:UNUSED_PAD src0_sel:WORD_1 src1_sel:DWORD
	v_pk_fma_f16 v32, 0x3b15bbc4, v24, v72 op_sel:[0,0,1] op_sel_hi:[1,1,0]
	v_add_f16_e32 v35, v78, v35
	v_add_f16_e32 v33, v76, v33
	v_pk_fma_f16 v76, 0xb9fdb5ac, v51, v92 op_sel:[0,0,1] op_sel_hi:[1,1,0] neg_lo:[0,0,1] neg_hi:[0,0,1]
	v_add_f16_e32 v107, v29, v30
	v_add_f16_e32 v108, v77, v75
	v_fmamk_f16 v29, v53, 0xbbc4, v64
	v_pack_b32_f16 v30, v31, v32
	v_mul_f16_e32 v31, 0x3b15, v81
	v_fmamk_f16 v23, v85, 0xbbc4, v23
	v_pk_mul_f16 v75, 0x388b3b15, v43
	v_lshrrev_b32_e32 v99, 16, v53
	v_mul_f16_e32 v78, 0x3770, v105
	v_pk_add_f16 v28, v76, v28
	v_perm_b32 v31, v0, v31, 0x5040100
	v_add_f16_e32 v29, v29, v34
	v_pack_b32_f16 v23, v23, v75
	v_perm_b32 v32, v74, v0, 0x7060302
	v_fma_f16 v34, v99, 0x3b15, -v78
	v_pk_mul_f16 v76, 0x2fb7b9fd, v44
	v_mul_f16_e32 v77, 0xb9fd, v89
	v_mul_f16_e32 v95, 0xb94e, v105
	v_pk_add_f16 v31, v30, v31
	v_pk_add_f16 v23, v23, v32
	v_add_f16_e32 v30, v34, v35
	v_pack_b32_f16 v32, v79, v76
	v_bfi_b32 v34, 0xffff, v77, v82
	v_pk_mul_f16 v77, 0xb5ac388b, v45
	v_mul_f16_e32 v35, 0x388b, v91
	v_fma_f16 v79, v99, 0xb9fd, -v95
	v_pk_add_f16 v23, v23, v31
	v_pk_add_f16 v32, v32, v34
	v_pack_b32_f16 v34, v83, v77
	v_bfi_b32 v35, 0xffff, v35, v88
	v_add_f16_e32 v31, v79, v33
	v_pk_mul_f16 v79, 0xb9fdb5ac, v51
	v_mul_f16_e32 v33, 0xb5ac, v94
	v_pk_add_f16 v23, v32, v23
	v_pk_add_f16 v32, v34, v35
	v_mul_f16_e32 v35, 0x3bf1, v105
	v_pack_b32_f16 v34, v103, v79
	v_bfi_b32 v33, 0xffff, v33, v92
	v_pk_mul_f16 v103, 0x3bf1b3a8, v105
	v_mul_f16_e32 v109, 0x2fb7, v99
	v_pk_mul_f16 v83, 0xbbc42fb7, v53
	v_mul_f16_e32 v101, 0x3a95, v105
	v_pk_add_f16 v23, v32, v23
	v_mul_f16_e32 v105, 0xbb7b, v105
	v_pk_add_f16 v32, v34, v33
	v_bfi_b32 v33, 0xffff, v109, v103
	v_pack_b32_f16 v34, v35, v83
	v_fma_f16 v109, v99, 0x388b, -v101
	v_fma_f16 v110, v99, 0xb5ac, -v105
	v_pk_add_f16 v111, v32, v23
	v_pk_fma_f16 v23, 0xbbc42fb7, v53, v103 op_sel:[0,0,1] op_sel_hi:[1,1,0] neg_lo:[0,0,1] neg_hi:[0,0,1]
	v_pk_add_f16 v34, v34, v33
	v_fma_f16 v112, v99, 0x2fb7, -v35
	v_add_f16_e32 v32, v109, v106
	v_add_f16_e32 v33, v110, v107
	v_pk_add_f16 v23, v23, v28
	v_pk_add_f16 v35, v34, v111
	v_add_f16_e32 v34, v112, v108
	v_mul_lo_u16 v28, v26, 13
	s_barrier
	buffer_gl0_inv
	s_and_saveexec_b32 s4, vcc_lo
	s_cbranch_execz .LBB0_7
; %bb.6:
	v_mul_f16_e32 v106, 0xb9fd, v85
	v_mul_f16_e32 v108, 0x2fb7, v81
	;; [unrolled: 1-line block ×5, first 2 shown]
	v_add_f16_e32 v97, v97, v106
	v_add_f16_e32 v96, v96, v108
	v_mul_f16_e32 v108, 0xb9fd, v24
	v_mul_f16_e32 v106, 0xbbc4, v91
	v_add_f16_e32 v100, v100, v110
	v_add_f16_sdwa v97, v97, v0 dst_sel:DWORD dst_unused:UNUSED_PAD src0_sel:DWORD src1_sel:WORD_1
	v_sub_f16_e32 v48, v114, v48
	v_sub_f16_e32 v46, v108, v46
	v_add_f16_e32 v102, v102, v106
	v_mul_f16_e32 v115, 0xb5ac, v99
	v_add_f16_e32 v96, v96, v97
	v_add_f16_e32 v104, v104, v112
	;; [unrolled: 1-line block ×3, first 2 shown]
	v_mul_f16_e32 v111, 0x388b, v85
	v_mul_f16_e32 v97, 0x2fb7, v85
	v_add_f16_e32 v96, v100, v96
	v_mul_f16_e32 v100, 0x388b, v44
	v_add_f16_e32 v46, v48, v46
	;; [unrolled: 2-line block ×3, first 2 shown]
	v_add_f16_e32 v96, v102, v96
	v_sub_f16_e32 v48, v100, v62
	v_mul_f16_e32 v110, 0xb5ac, v24
	v_mul_f16_e32 v62, 0xb5ac, v81
	v_add_f16_e32 v84, v84, v85
	v_add_f16_e32 v96, v104, v96
	;; [unrolled: 1-line block ×3, first 2 shown]
	v_mul_f16_e32 v48, 0xbbc4, v45
	v_mul_f16_e32 v102, 0x388b, v43
	;; [unrolled: 1-line block ×3, first 2 shown]
	v_add_f16_e32 v96, v105, v96
	v_mul_f16_e32 v105, 0xbbc4, v81
	v_mul_f16_e32 v81, 0xb9fd, v81
	v_sub_f16_e32 v48, v48, v67
	v_mul_f16_e32 v67, 0x3b15, v51
	v_mul_f16_e32 v100, 0xbbc4, v43
	;; [unrolled: 1-line block ×3, first 2 shown]
	v_add_f16_e32 v81, v86, v81
	v_add_f16_sdwa v84, v84, v0 dst_sel:DWORD dst_unused:UNUSED_PAD src0_sel:DWORD src1_sel:WORD_1
	v_add_f16_e32 v46, v48, v46
	v_mul_f16_e32 v48, 0x3b15, v89
	v_sub_f16_e32 v66, v67, v66
	v_sub_f16_e32 v36, v110, v36
	v_add_f16_e32 v81, v81, v84
	v_sub_f16_e32 v40, v43, v40
	v_add_f16_e32 v48, v90, v48
	v_add_f16_e32 v46, v66, v46
	v_mul_f16_e32 v66, 0x2fb7, v91
	v_add_f16_e32 v36, v36, v0
	v_mul_f16_e32 v85, 0x2fb7, v44
	v_mul_f16_e32 v86, 0xbbc4, v44
	;; [unrolled: 1-line block ×5, first 2 shown]
	v_add_f16_e32 v48, v48, v81
	v_add_f16_e32 v66, v93, v66
	;; [unrolled: 1-line block ×3, first 2 shown]
	v_mul_f16_e32 v40, 0xbbc4, v94
	v_add_f16_e32 v65, v65, v97
	v_mul_f16_e32 v113, 0x2fb7, v24
	v_mul_f16_e32 v67, 0xbbc4, v89
	v_mul_f16_e32 v89, 0xb5ac, v89
	v_sub_f16_e32 v71, v90, v71
	v_mul_f16_e32 v90, 0xb5ac, v45
	v_mul_f16_e32 v81, 0xb9fd, v45
	;; [unrolled: 1-line block ×4, first 2 shown]
	v_add_f16_e32 v48, v66, v48
	v_sub_f16_e32 v42, v44, v42
	v_add_f16_e32 v40, v98, v40
	v_add_f16_e32 v69, v69, v105
	v_add_f16_sdwa v65, v65, v0 dst_sel:DWORD dst_unused:UNUSED_PAD src0_sel:DWORD src1_sel:WORD_1
	v_mul_f16_e32 v93, 0xb9fd, v91
	v_mul_f16_e32 v91, 0x3b15, v91
	;; [unrolled: 1-line block ×3, first 2 shown]
	v_add_f16_e32 v46, v71, v46
	v_mul_f16_e32 v71, 0x2fb7, v51
	v_mul_f16_e32 v44, 0x388b, v51
	;; [unrolled: 1-line block ×3, first 2 shown]
	v_add_f16_e32 v36, v42, v36
	v_sub_f16_e32 v45, v45, v57
	v_add_f16_e32 v40, v40, v48
	v_sub_f16_e32 v22, v113, v22
	v_add_f16_e32 v48, v69, v65
	v_add_f16_e32 v65, v73, v89
	v_mul_f16_e32 v66, 0x2fb7, v94
	v_mul_f16_e32 v94, 0x388b, v94
	v_add_f16_e32 v36, v45, v36
	v_sub_f16_e32 v45, v51, v56
	v_add_f16_e32 v22, v22, v0
	v_sub_f16_e32 v27, v100, v27
	v_add_f16_e32 v48, v65, v48
	v_add_f16_e32 v51, v80, v91
	;; [unrolled: 1-line block ×5, first 2 shown]
	v_sub_f16_e32 v27, v84, v39
	v_add_f16_e32 v39, v51, v48
	v_add_f16_e32 v48, v58, v111
	v_mul_f16_e32 v109, 0x388b, v24
	v_pk_add_f16 v1, v1, v0
	v_add_f16_e32 v22, v27, v22
	v_sub_f16_e32 v27, v106, v41
	v_add_f16_e32 v39, v45, v39
	v_add_f16_sdwa v41, v48, v0 dst_sel:DWORD dst_unused:UNUSED_PAD src0_sel:DWORD src1_sel:WORD_1
	v_add_f16_e32 v45, v59, v62
	v_sub_f16_e32 v18, v109, v18
	v_add_f16_e32 v22, v27, v22
	v_sub_f16_e32 v27, v44, v47
	v_add_f16_e32 v44, v63, v67
	v_add_f16_e32 v41, v45, v41
	;; [unrolled: 1-line block ×3, first 2 shown]
	v_sub_f16_e32 v19, v104, v19
	v_add_f16_e32 v22, v27, v22
	v_pk_add_f16 v1, v15, v1
	v_add_f16_e32 v27, v44, v41
	v_add_f16_e32 v41, v70, v93
	v_mul_f16_e32 v107, 0x3b15, v24
	v_mul_f16_e32 v97, 0xb9fd, v53
	v_pk_mul_f16 v24, 0x3b15bbc4, v24
	v_add_f16_e32 v18, v19, v18
	v_sub_f16_e32 v19, v86, v21
	v_add_f16_e32 v21, v41, v27
	v_add_f16_e32 v27, v68, v66
	v_pk_add_f16 v1, v16, v1
	v_alignbit_b32 v72, v72, v72, 16
	v_sub_f16_e32 v44, v97, v49
	v_add_f16_e32 v18, v19, v18
	v_sub_f16_e32 v19, v81, v20
	v_add_f16_e32 v20, v27, v21
	v_bfi_b32 v21, 0xffff, v50, v24
	v_pk_add_f16 v1, v13, v1
	v_alignbit_b32 v74, v74, v74, 16
	v_add_f16_e32 v15, v44, v22
	v_add_f16_e32 v18, v19, v18
	v_bfi_b32 v19, 0xffff, v52, v75
	v_pk_add_f16 v21, v107, v21 neg_lo:[0,1] neg_hi:[0,1]
	v_pk_add_f16 v22, v72, v24
	v_pk_add_f16 v1, v14, v1
	v_alignbit_b32 v82, v82, v82, 16
	v_pk_add_f16 v19, v102, v19 neg_lo:[0,1] neg_hi:[0,1]
	v_pk_add_f16 v14, v74, v75
	v_bfi_b32 v24, 0xffff, v55, v76
	v_bfi_b32 v21, 0xffff, v21, v22
	v_pk_add_f16 v1, v11, v1
	v_alignbit_b32 v88, v88, v88, 16
	v_bfi_b32 v22, 0xffff, v60, v77
	v_bfi_b32 v11, 0xffff, v19, v14
	v_pk_add_f16 v14, v85, v24 neg_lo:[0,1] neg_hi:[0,1]
	v_pk_add_f16 v19, v82, v76
	v_pk_add_f16 v1, v12, v1
	;; [unrolled: 1-line block ×3, first 2 shown]
	v_alignbit_b32 v92, v92, v92, 16
	v_pk_add_f16 v22, v90, v22 neg_lo:[0,1] neg_hi:[0,1]
	v_pk_add_f16 v12, v88, v77
	v_bfi_b32 v21, 0xffff, v61, v79
	v_bfi_b32 v14, 0xffff, v14, v19
	v_pk_add_f16 v1, v9, v1
	v_pk_add_f16 v0, v11, v0
	v_mul_f16_e32 v98, 0xbbc4, v53
	v_mul_f16_e32 v42, 0x3b15, v53
	;; [unrolled: 1-line block ×3, first 2 shown]
	v_alignbit_b32 v103, v103, v103, 16
	v_sub_f16_e32 v13, v71, v38
	v_bfi_b32 v9, 0xffff, v22, v12
	v_pk_add_f16 v11, v43, v21 neg_lo:[0,1] neg_hi:[0,1]
	v_pk_add_f16 v12, v92, v79
	v_pk_add_f16 v1, v10, v1
	;; [unrolled: 1-line block ×3, first 2 shown]
	v_bfi_b32 v10, 0xffff, v64, v83
	v_mul_f16_e32 v105, 0xb9fd, v99
	v_mul_f16_e32 v53, 0x388b, v53
	;; [unrolled: 1-line block ×3, first 2 shown]
	v_add_f16_e32 v16, v78, v57
	v_add_f16_e32 v13, v13, v18
	v_bfi_b32 v11, 0xffff, v11, v12
	v_pk_add_f16 v1, v2, v1
	v_pk_add_f16 v0, v9, v0
	v_pk_add_f16 v2, v98, v10 neg_lo:[0,1] neg_hi:[0,1]
	v_pk_add_f16 v9, v103, v83
	v_sub_f16_e32 v10, v42, v37
	v_add_f16_e32 v48, v95, v105
	v_add_f16_e32 v56, v101, v99
	v_sub_f16_e32 v51, v53, v54
	v_mov_b32_e32 v12, 2
	v_pk_add_f16 v1, v3, v1
	v_pk_add_f16 v0, v11, v0
	v_bfi_b32 v2, 0xffff, v2, v9
	v_add_f16_e32 v3, v16, v20
	v_add_f16_e32 v9, v10, v13
	v_add_f16_e32 v39, v48, v39
	v_lshlrev_b32_sdwa v10, v12, v28 dst_sel:DWORD dst_unused:UNUSED_PAD src0_sel:DWORD src1_sel:WORD_0
	v_pk_add_f16 v1, v17, v1
	v_pk_add_f16 v0, v2, v0
	v_pack_b32_f16 v3, v9, v3
	v_add_f16_e32 v9, v56, v40
	v_add_f16_e32 v11, v51, v36
	v_pack_b32_f16 v2, v15, v39
	ds_write2_b32 v10, v1, v0 offset1:1
	ds_write2_b32 v10, v3, v2 offset0:2 offset1:3
	v_pack_b32_f16 v0, v46, v96
	v_pack_b32_f16 v1, v11, v9
	v_perm_b32 v2, v35, v23, 0x5040100
	v_alignbit_b32 v3, v34, v35, 16
	v_perm_b32 v9, v32, v8, 0x5040100
	v_perm_b32 v11, v33, v7, 0x5040100
	;; [unrolled: 1-line block ×4, first 2 shown]
	v_bfi_b32 v14, 0xffff, v29, v23
	ds_write2_b32 v10, v1, v0 offset0:4 offset1:5
	ds_write2_b32 v10, v2, v3 offset0:6 offset1:7
	;; [unrolled: 1-line block ×4, first 2 shown]
	ds_write_b32 v10, v14 offset:48
.LBB0_7:
	s_or_b32 exec_lo, exec_lo, s4
	v_and_b32_e32 v0, 0xff, v26
	v_add_co_u32 v19, null, 0x75, v26
	s_load_dwordx4 s[4:7], s[2:3], 0x0
	s_waitcnt lgkmcnt(0)
	v_mul_lo_u16 v1, 0x4f, v0
	v_and_b32_e32 v2, 0xff, v19
	s_barrier
	buffer_gl0_inv
	v_mul_lo_u16 v0, 0xa5, v0
	v_lshrrev_b16 v15, 10, v1
	v_mul_lo_u16 v1, 0x4f, v2
	v_lshrrev_b16 v20, 8, v0
	;; [unrolled: 2-line block ×3, first 2 shown]
	v_sub_nc_u16 v1, v26, v2
	v_mul_lo_u16 v2, v16, 13
	v_and_b32_e32 v17, 0xff, v1
	v_sub_nc_u16 v1, v19, v2
	v_lshlrev_b32_e32 v19, 3, v19
	v_lshlrev_b32_e32 v2, 3, v17
	v_and_b32_e32 v18, 0xff, v1
	global_load_dwordx2 v[9:10], v2, s[0:1]
	v_lshlrev_b32_e32 v1, 3, v18
	global_load_dwordx2 v[11:12], v1, s[0:1]
	v_mov_b32_e32 v1, 2
	v_sub_nc_u16 v2, v26, v20
	v_lshlrev_b32_sdwa v27, v1, v26 dst_sel:DWORD dst_unused:UNUSED_PAD src0_sel:DWORD src1_sel:WORD_0
	v_lshrrev_b16 v21, 1, v2
	v_add_nc_u32_e32 v24, 0x200, v27
	v_and_b32_e32 v21, 0x7f, v21
	v_add_nc_u32_e32 v46, 0x600, v27
	ds_read2_b32 v[0:1], v27 offset1:117
	ds_read2_b32 v[2:3], v24 offset0:106 offset1:223
	ds_read2_b32 v[13:14], v46 offset0:84 offset1:201
	v_add_nc_u16 v20, v21, v20
	v_mov_b32_e32 v21, 39
	s_waitcnt vmcnt(0) lgkmcnt(0)
	s_barrier
	buffer_gl0_inv
	v_lshrrev_b16 v20, 5, v20
	v_mul_u32_u24_sdwa v15, v15, v21 dst_sel:DWORD dst_unused:UNUSED_PAD src0_sel:WORD_0 src1_sel:DWORD
	v_mul_u32_u24_sdwa v16, v16, v21 dst_sel:DWORD dst_unused:UNUSED_PAD src0_sel:WORD_0 src1_sel:DWORD
	v_and_b32_e32 v20, 7, v20
	v_add_lshl_u32 v36, v15, v17, 2
	v_add_lshl_u32 v37, v16, v18, 2
	v_mul_lo_u16 v39, v20, 39
	v_lshrrev_b32_e32 v21, 16, v0
	v_lshrrev_b32_e32 v22, 16, v1
	;; [unrolled: 1-line block ×4, first 2 shown]
	v_sub_nc_u16 v16, v26, v39
	v_lshrrev_b32_e32 v38, 16, v3
	v_lshrrev_b32_e32 v40, 16, v14
	v_and_b32_e32 v42, 0xff, v16
	v_mul_f16_sdwa v18, v15, v9 dst_sel:DWORD dst_unused:UNUSED_PAD src0_sel:DWORD src1_sel:WORD_1
	v_mul_f16_sdwa v39, v2, v9 dst_sel:DWORD dst_unused:UNUSED_PAD src0_sel:DWORD src1_sel:WORD_1
	;; [unrolled: 1-line block ×4, first 2 shown]
	v_fma_f16 v2, v2, v9, -v18
	v_fmac_f16_e32 v39, v15, v9
	v_fma_f16 v13, v13, v10, -v41
	v_mul_f16_sdwa v15, v38, v11 dst_sel:DWORD dst_unused:UNUSED_PAD src0_sel:DWORD src1_sel:WORD_1
	v_mul_f16_sdwa v18, v3, v11 dst_sel:DWORD dst_unused:UNUSED_PAD src0_sel:DWORD src1_sel:WORD_1
	;; [unrolled: 1-line block ×4, first 2 shown]
	v_fmac_f16_e32 v16, v17, v10
	v_fma_f16 v3, v3, v11, -v15
	v_fmac_f16_e32 v18, v38, v11
	v_fma_f16 v14, v14, v12, -v41
	v_fmac_f16_e32 v43, v40, v12
	v_add_f16_e32 v15, v0, v2
	v_add_f16_e32 v17, v2, v13
	v_sub_f16_e32 v38, v39, v16
	v_add_f16_e32 v40, v21, v39
	v_add_f16_e32 v39, v39, v16
	v_sub_f16_e32 v2, v2, v13
	v_add_f16_e32 v13, v15, v13
	v_fma_f16 v0, -0.5, v17, v0
	v_add_f16_e32 v15, v40, v16
	v_fmac_f16_e32 v21, -0.5, v39
	v_add_f16_e32 v17, v3, v14
	v_sub_f16_e32 v39, v18, v43
	v_add_f16_e32 v40, v22, v18
	v_add_f16_e32 v18, v18, v43
	;; [unrolled: 1-line block ×3, first 2 shown]
	v_sub_f16_e32 v3, v3, v14
	v_fmac_f16_e32 v1, -0.5, v17
	v_fmamk_f16 v41, v38, 0x3aee, v0
	v_fmac_f16_e32 v22, -0.5, v18
	v_fmac_f16_e32 v0, 0xbaee, v38
	v_fmamk_f16 v38, v2, 0xbaee, v21
	v_fmac_f16_e32 v21, 0x3aee, v2
	v_add_f16_e32 v2, v16, v14
	v_add_f16_e32 v14, v40, v43
	v_pack_b32_f16 v15, v13, v15
	v_fmamk_f16 v13, v39, 0x3aee, v1
	v_fmamk_f16 v16, v3, 0xbaee, v22
	v_fmac_f16_e32 v1, 0xbaee, v39
	v_pack_b32_f16 v2, v2, v14
	v_fmac_f16_e32 v22, 0x3aee, v3
	v_pack_b32_f16 v3, v41, v38
	v_pack_b32_f16 v16, v13, v16
	v_mad_u64_u32 v[13:14], null, v42, 20, s[0:1]
	v_pack_b32_f16 v0, v0, v21
	v_pack_b32_f16 v1, v1, v22
	ds_write2_b32 v36, v15, v3 offset1:13
	ds_write_b32 v36, v0 offset:104
	ds_write2_b32 v37, v2, v16 offset1:13
	ds_write_b32 v37, v1 offset:104
	s_waitcnt lgkmcnt(0)
	s_barrier
	buffer_gl0_inv
	s_clause 0x1
	global_load_dwordx4 v[0:3], v[13:14], off offset:104
	global_load_dword v38, v[13:14], off offset:120
	ds_read2_b32 v[13:14], v27 offset1:117
	ds_read2_b32 v[15:16], v24 offset0:106 offset1:223
	ds_read2_b32 v[17:18], v46 offset0:84 offset1:201
	v_mov_b32_e32 v21, 0xea
	s_waitcnt vmcnt(0) lgkmcnt(0)
	s_barrier
	buffer_gl0_inv
	v_mul_u32_u24_sdwa v20, v20, v21 dst_sel:DWORD dst_unused:UNUSED_PAD src0_sel:WORD_0 src1_sel:DWORD
	v_lshlrev_b32_e32 v21, 3, v26
	v_add_lshl_u32 v39, v20, v42, 2
	v_lshrrev_b32_e32 v22, 16, v14
	v_lshrrev_b32_e32 v40, 16, v15
	v_lshrrev_b32_e32 v41, 16, v16
	v_lshrrev_b32_e32 v42, 16, v17
	v_lshrrev_b32_e32 v43, 16, v18
	v_lshrrev_b32_e32 v20, 16, v13
	v_mul_f16_sdwa v45, v14, v0 dst_sel:DWORD dst_unused:UNUSED_PAD src0_sel:DWORD src1_sel:WORD_1
	v_mul_f16_sdwa v47, v40, v1 dst_sel:DWORD dst_unused:UNUSED_PAD src0_sel:DWORD src1_sel:WORD_1
	;; [unrolled: 1-line block ×10, first 2 shown]
	v_fmac_f16_e32 v45, v22, v0
	v_fma_f16 v15, v15, v1, -v47
	v_fmac_f16_e32 v48, v40, v1
	v_fma_f16 v16, v16, v2, -v49
	;; [unrolled: 2-line block ×5, first 2 shown]
	v_add_f16_e32 v40, v15, v17
	v_sub_f16_e32 v41, v48, v52
	v_add_f16_e32 v42, v20, v48
	v_add_f16_e32 v43, v48, v52
	;; [unrolled: 1-line block ×3, first 2 shown]
	v_sub_f16_e32 v48, v50, v54
	v_add_f16_e32 v49, v45, v50
	v_add_f16_e32 v50, v50, v54
	;; [unrolled: 1-line block ×3, first 2 shown]
	v_sub_f16_e32 v15, v15, v17
	v_add_f16_e32 v44, v14, v16
	v_sub_f16_e32 v16, v16, v18
	v_fmac_f16_e32 v13, -0.5, v40
	v_fmac_f16_e32 v20, -0.5, v43
	;; [unrolled: 1-line block ×4, first 2 shown]
	v_add_f16_e32 v17, v22, v17
	v_add_f16_e32 v22, v42, v52
	;; [unrolled: 1-line block ×3, first 2 shown]
	v_fmamk_f16 v42, v41, 0x3aee, v13
	v_fmac_f16_e32 v13, 0xbaee, v41
	v_fmamk_f16 v41, v15, 0xbaee, v20
	v_fmac_f16_e32 v20, 0x3aee, v15
	v_fmamk_f16 v15, v48, 0x3aee, v14
	v_fmamk_f16 v43, v16, 0xbaee, v45
	v_fmac_f16_e32 v14, 0xbaee, v48
	v_fmac_f16_e32 v45, 0x3aee, v16
	v_add_f16_e32 v16, v17, v18
	v_sub_f16_e32 v17, v17, v18
	v_mul_f16_e32 v18, 0x3aee, v43
	v_mul_f16_e32 v48, 0xbaee, v15
	v_add_f16_e32 v40, v49, v54
	v_mul_f16_e32 v47, -0.5, v14
	v_mul_f16_e32 v49, -0.5, v45
	v_fmac_f16_e32 v18, 0.5, v15
	v_fmac_f16_e32 v48, 0.5, v43
	v_add_f16_e32 v44, v22, v40
	v_fmac_f16_e32 v47, 0x3aee, v45
	v_fmac_f16_e32 v49, 0xbaee, v14
	v_sub_f16_e32 v22, v22, v40
	v_add_f16_e32 v15, v42, v18
	v_add_f16_e32 v40, v41, v48
	v_pack_b32_f16 v14, v16, v44
	v_add_f16_e32 v16, v13, v47
	v_add_f16_e32 v43, v20, v49
	v_sub_f16_e32 v18, v42, v18
	v_sub_f16_e32 v13, v13, v47
	;; [unrolled: 1-line block ×4, first 2 shown]
	v_pack_b32_f16 v15, v15, v40
	v_pack_b32_f16 v17, v17, v22
	;; [unrolled: 1-line block ×5, first 2 shown]
	ds_write2_b32 v39, v14, v15 offset1:39
	ds_write2_b32 v39, v16, v17 offset0:78 offset1:117
	ds_write2_b32 v39, v18, v13 offset0:156 offset1:195
	s_waitcnt lgkmcnt(0)
	s_barrier
	buffer_gl0_inv
	s_clause 0x1
	global_load_dwordx2 v[15:16], v21, s[0:1] offset:884
	global_load_dwordx2 v[13:14], v19, s[0:1] offset:884
	ds_read2_b32 v[19:20], v27 offset1:117
	ds_read2_b32 v[17:18], v24 offset0:106 offset1:223
	ds_read2_b32 v[21:22], v46 offset0:84 offset1:201
	s_waitcnt lgkmcnt(2)
	v_lshrrev_b32_e32 v41, 16, v20
	s_waitcnt lgkmcnt(1)
	v_lshrrev_b32_e32 v40, 16, v17
	s_waitcnt lgkmcnt(0)
	v_lshrrev_b32_e32 v43, 16, v21
	v_lshrrev_b32_e32 v44, 16, v18
	v_lshrrev_b32_e32 v45, 16, v22
	;; [unrolled: 1-line block ×3, first 2 shown]
	s_waitcnt vmcnt(1)
	v_mul_f16_sdwa v47, v40, v15 dst_sel:DWORD dst_unused:UNUSED_PAD src0_sel:DWORD src1_sel:WORD_1
	v_mul_f16_sdwa v48, v17, v15 dst_sel:DWORD dst_unused:UNUSED_PAD src0_sel:DWORD src1_sel:WORD_1
	;; [unrolled: 1-line block ×4, first 2 shown]
	s_waitcnt vmcnt(0)
	v_mul_f16_sdwa v51, v44, v13 dst_sel:DWORD dst_unused:UNUSED_PAD src0_sel:DWORD src1_sel:WORD_1
	v_mul_f16_sdwa v52, v18, v13 dst_sel:DWORD dst_unused:UNUSED_PAD src0_sel:DWORD src1_sel:WORD_1
	v_mul_f16_sdwa v53, v45, v14 dst_sel:DWORD dst_unused:UNUSED_PAD src0_sel:DWORD src1_sel:WORD_1
	v_mul_f16_sdwa v54, v22, v14 dst_sel:DWORD dst_unused:UNUSED_PAD src0_sel:DWORD src1_sel:WORD_1
	v_fma_f16 v17, v17, v15, -v47
	v_fmac_f16_e32 v48, v40, v15
	v_fma_f16 v21, v21, v16, -v49
	v_fmac_f16_e32 v50, v43, v16
	;; [unrolled: 2-line block ×4, first 2 shown]
	v_add_f16_e32 v40, v19, v17
	v_add_f16_e32 v43, v17, v21
	;; [unrolled: 1-line block ×4, first 2 shown]
	v_sub_f16_e32 v53, v52, v54
	v_add_f16_e32 v55, v41, v52
	v_add_f16_e32 v52, v52, v54
	;; [unrolled: 1-line block ×4, first 2 shown]
	v_sub_f16_e32 v44, v48, v50
	v_sub_f16_e32 v48, v17, v21
	;; [unrolled: 1-line block ×3, first 2 shown]
	v_add_f16_e32 v17, v40, v21
	v_fma_f16 v21, -0.5, v43, v19
	v_fmac_f16_e32 v42, -0.5, v47
	v_fmac_f16_e32 v20, -0.5, v51
	;; [unrolled: 1-line block ×3, first 2 shown]
	v_add_f16_e32 v40, v45, v50
	v_add_f16_e32 v22, v49, v22
	;; [unrolled: 1-line block ×3, first 2 shown]
	v_fmamk_f16 v18, v44, 0x3aee, v21
	v_fmac_f16_e32 v21, 0xbaee, v44
	v_fmamk_f16 v45, v48, 0xbaee, v42
	v_fmamk_f16 v19, v53, 0x3aee, v20
	;; [unrolled: 1-line block ×3, first 2 shown]
	v_fmac_f16_e32 v42, 0x3aee, v48
	v_fmac_f16_e32 v20, 0xbaee, v53
	;; [unrolled: 1-line block ×3, first 2 shown]
	v_pack_b32_f16 v47, v17, v40
	v_pack_b32_f16 v48, v22, v43
	v_pack_b32_f16 v49, v18, v45
	v_pack_b32_f16 v51, v19, v44
	v_pack_b32_f16 v50, v21, v42
	v_pack_b32_f16 v52, v20, v41
	ds_write2_b32 v27, v47, v48 offset1:117
	ds_write2_b32 v24, v49, v51 offset0:106 offset1:223
	ds_write2_b32 v46, v50, v52 offset0:84 offset1:201
	s_waitcnt lgkmcnt(0)
	s_barrier
	buffer_gl0_inv
	s_and_saveexec_b32 s1, vcc_lo
	s_cbranch_execz .LBB0_9
; %bb.8:
	v_add_co_u32 v24, s0, s10, v25
	v_add_co_ci_u32_e64 v49, null, s11, 0, s0
	v_add_nc_u32_e32 v69, 0x400, v25
	v_add_co_u32 v46, s0, 0x800, v24
	v_add_co_ci_u32_e64 v47, s0, 0, v49, s0
	v_add_nc_u32_e32 v70, 0x600, v25
	v_add_nc_u32_e32 v71, 0x800, v25
	global_load_dword v50, v[46:47], off offset:760
	v_add_co_u32 v46, s0, 0xaf8, v24
	v_add_co_ci_u32_e64 v47, s0, 0, v49, s0
	v_add_co_u32 v48, s0, 0x1000, v24
	s_clause 0x3
	global_load_dword v58, v[46:47], off offset:216
	global_load_dword v59, v[46:47], off offset:432
	;; [unrolled: 1-line block ×4, first 2 shown]
	v_add_co_ci_u32_e64 v49, s0, 0, v49, s0
	s_clause 0x7
	global_load_dword v24, v[46:47], off offset:1080
	global_load_dword v62, v[46:47], off offset:1296
	;; [unrolled: 1-line block ×8, first 2 shown]
	ds_read_b32 v46, v27
	s_waitcnt lgkmcnt(0)
	v_lshrrev_b32_e32 v47, 16, v46
	s_waitcnt vmcnt(12)
	v_mul_f16_sdwa v48, v47, v50 dst_sel:DWORD dst_unused:UNUSED_PAD src0_sel:DWORD src1_sel:WORD_1
	v_mul_f16_sdwa v49, v46, v50 dst_sel:DWORD dst_unused:UNUSED_PAD src0_sel:DWORD src1_sel:WORD_1
	v_fma_f16 v46, v46, v50, -v48
	v_fmac_f16_e32 v49, v47, v50
	v_pack_b32_f16 v46, v46, v49
	ds_write_b32 v27, v46
	ds_read2_b32 v[46:47], v25 offset0:54 offset1:108
	ds_read2_b32 v[48:49], v25 offset0:162 offset1:216
	ds_read2_b32 v[50:51], v69 offset0:14 offset1:68
	ds_read2_b32 v[52:53], v69 offset0:122 offset1:176
	ds_read2_b32 v[54:55], v70 offset0:102 offset1:156
	ds_read2_b32 v[56:57], v71 offset0:82 offset1:136
	s_waitcnt lgkmcnt(4)
	v_lshrrev_b32_e32 v76, 16, v48
	v_lshrrev_b32_e32 v72, 16, v46
	s_waitcnt vmcnt(11)
	v_mul_f16_sdwa v73, v46, v58 dst_sel:DWORD dst_unused:UNUSED_PAD src0_sel:DWORD src1_sel:WORD_1
	v_lshrrev_b32_e32 v74, 16, v47
	s_waitcnt vmcnt(10)
	v_mul_f16_sdwa v75, v47, v59 dst_sel:DWORD dst_unused:UNUSED_PAD src0_sel:DWORD src1_sel:WORD_1
	s_waitcnt vmcnt(9)
	v_mul_f16_sdwa v77, v48, v60 dst_sel:DWORD dst_unused:UNUSED_PAD src0_sel:DWORD src1_sel:WORD_1
	v_lshrrev_b32_e32 v78, 16, v49
	s_waitcnt vmcnt(8)
	v_mul_f16_sdwa v79, v49, v61 dst_sel:DWORD dst_unused:UNUSED_PAD src0_sel:DWORD src1_sel:WORD_1
	s_waitcnt lgkmcnt(3)
	v_lshrrev_b32_e32 v80, 16, v50
	s_waitcnt vmcnt(7)
	v_mul_f16_sdwa v81, v50, v24 dst_sel:DWORD dst_unused:UNUSED_PAD src0_sel:DWORD src1_sel:WORD_1
	v_lshrrev_b32_e32 v82, 16, v51
	s_waitcnt vmcnt(6)
	v_mul_f16_sdwa v83, v51, v62 dst_sel:DWORD dst_unused:UNUSED_PAD src0_sel:DWORD src1_sel:WORD_1
	s_waitcnt lgkmcnt(2)
	v_lshrrev_b32_e32 v84, 16, v52
	;; [unrolled: 7-line block ×3, first 2 shown]
	s_waitcnt vmcnt(0)
	v_mul_f16_sdwa v89, v54, v68 dst_sel:DWORD dst_unused:UNUSED_PAD src0_sel:DWORD src1_sel:WORD_1
	v_lshrrev_b32_e32 v90, 16, v55
	v_mul_f16_sdwa v91, v55, v65 dst_sel:DWORD dst_unused:UNUSED_PAD src0_sel:DWORD src1_sel:WORD_1
	s_waitcnt lgkmcnt(0)
	v_lshrrev_b32_e32 v92, 16, v56
	v_mul_f16_sdwa v93, v56, v66 dst_sel:DWORD dst_unused:UNUSED_PAD src0_sel:DWORD src1_sel:WORD_1
	v_lshrrev_b32_e32 v94, 16, v57
	v_mul_f16_sdwa v96, v72, v58 dst_sel:DWORD dst_unused:UNUSED_PAD src0_sel:DWORD src1_sel:WORD_1
	v_fmac_f16_e32 v73, v72, v58
	v_mul_f16_sdwa v72, v74, v59 dst_sel:DWORD dst_unused:UNUSED_PAD src0_sel:DWORD src1_sel:WORD_1
	v_fmac_f16_e32 v75, v74, v59
	;; [unrolled: 2-line block ×9, first 2 shown]
	v_mul_f16_sdwa v88, v90, v65 dst_sel:DWORD dst_unused:UNUSED_PAD src0_sel:DWORD src1_sel:WORD_1
	v_mul_f16_sdwa v95, v57, v67 dst_sel:DWORD dst_unused:UNUSED_PAD src0_sel:DWORD src1_sel:WORD_1
	v_fmac_f16_e32 v91, v90, v65
	v_mul_f16_sdwa v90, v92, v66 dst_sel:DWORD dst_unused:UNUSED_PAD src0_sel:DWORD src1_sel:WORD_1
	v_fmac_f16_e32 v93, v92, v66
	v_mul_f16_sdwa v92, v94, v67 dst_sel:DWORD dst_unused:UNUSED_PAD src0_sel:DWORD src1_sel:WORD_1
	v_fma_f16 v46, v46, v58, -v96
	v_fma_f16 v47, v47, v59, -v72
	;; [unrolled: 1-line block ×10, first 2 shown]
	v_fmac_f16_e32 v95, v94, v67
	v_fma_f16 v55, v56, v66, -v90
	v_fma_f16 v56, v57, v67, -v92
	v_pack_b32_f16 v46, v46, v73
	v_pack_b32_f16 v47, v47, v75
	;; [unrolled: 1-line block ×12, first 2 shown]
	ds_write2_b32 v25, v46, v47 offset0:54 offset1:108
	ds_write2_b32 v25, v48, v49 offset0:162 offset1:216
	;; [unrolled: 1-line block ×6, first 2 shown]
.LBB0_9:
	s_or_b32 exec_lo, exec_lo, s1
	v_lshrrev_b32_e32 v24, 16, v35
	s_waitcnt lgkmcnt(0)
	s_barrier
	buffer_gl0_inv
	s_and_saveexec_b32 s0, vcc_lo
	s_cbranch_execz .LBB0_11
; %bb.10:
	v_add_nc_u32_e32 v5, 0x200, v27
	v_add_nc_u32_e32 v6, 0x400, v27
	ds_read2_b32 v[17:18], v27 offset1:54
	ds_read2_b32 v[21:22], v27 offset0:108 offset1:162
	ds_read2_b32 v[19:20], v5 offset0:88 offset1:142
	v_add_nc_u32_e32 v5, 0x800, v27
	ds_read2_b32 v[23:24], v6 offset0:68 offset1:122
	ds_read2_b32 v[7:8], v6 offset0:176 offset1:230
	ds_read2_b32 v[5:6], v5 offset0:28 offset1:82
	ds_read_b32 v29, v27 offset:2592
	s_waitcnt lgkmcnt(6)
	v_lshrrev_b32_e32 v40, 16, v17
	v_lshrrev_b32_e32 v45, 16, v18
	s_waitcnt lgkmcnt(5)
	v_lshrrev_b32_e32 v42, 16, v21
	v_lshrrev_b32_e32 v43, 16, v22
	;; [unrolled: 3-line block ×6, first 2 shown]
	s_waitcnt lgkmcnt(0)
	v_bfi_b32 v23, 0xffff, v23, v29
.LBB0_11:
	s_or_b32 exec_lo, exec_lo, s0
	s_barrier
	buffer_gl0_inv
	s_and_saveexec_b32 s0, vcc_lo
	s_cbranch_execz .LBB0_13
; %bb.12:
	v_add_f16_sdwa v67, v23, v45 dst_sel:DWORD dst_unused:UNUSED_PAD src0_sel:WORD_1 src1_sel:DWORD
	v_sub_f16_e32 v50, v18, v29
	v_add_f16_e32 v68, v30, v42
	v_sub_f16_e32 v47, v21, v6
	v_add_f16_e32 v69, v31, v43
	v_mul_f16_e32 v70, 0xbbc4, v67
	v_sub_f16_e32 v48, v22, v5
	v_mul_f16_e32 v65, 0x3b15, v68
	v_add_f16_e32 v71, v32, v44
	v_mul_f16_e32 v66, 0xb9fd, v69
	v_fmamk_f16 v51, v50, 0x33a8, v70
	v_sub_f16_sdwa v73, v45, v23 dst_sel:DWORD dst_unused:UNUSED_PAD src0_sel:DWORD src1_sel:WORD_1
	v_fmamk_f16 v52, v47, 0xb770, v65
	v_sub_f16_e32 v46, v19, v8
	v_mul_f16_e32 v63, 0x388b, v71
	v_add_f16_e32 v53, v40, v51
	v_add_f16_e32 v51, v29, v18
	v_fmamk_f16 v54, v48, 0x394e, v66
	v_sub_f16_e32 v74, v42, v30
	v_mul_f16_e32 v75, 0xb3a8, v73
	v_add_f16_e32 v52, v52, v53
	v_add_f16_e32 v72, v33, v41
	v_fmamk_f16 v55, v46, 0xba95, v63
	v_add_f16_e32 v53, v6, v21
	v_mul_f16_e32 v76, 0x3770, v74
	v_add_f16_e32 v52, v54, v52
	v_fmamk_f16 v54, v51, 0xbbc4, v75
	v_sub_f16_e32 v77, v43, v31
	v_sub_f16_e32 v49, v20, v7
	v_mul_f16_e32 v64, 0xb5ac, v72
	v_add_f16_e32 v58, v55, v52
	v_add_f16_e32 v78, v34, v35
	;; [unrolled: 1-line block ×3, first 2 shown]
	v_fmamk_f16 v56, v53, 0x3b15, v76
	v_add_f16_e32 v55, v5, v22
	v_mul_f16_e32 v79, 0xb94e, v77
	v_sub_f16_e32 v81, v44, v32
	v_fmamk_f16 v57, v49, 0x3b7b, v64
	v_mul_f16_e32 v80, 0x2fb7, v78
	v_sub_f16_e32 v52, v23, v24
	v_add_f16_e32 v54, v56, v54
	v_fmamk_f16 v59, v55, 0xb9fd, v79
	v_add_f16_e32 v56, v8, v19
	v_mul_f16_e32 v82, 0x3a95, v81
	v_mul_f16_e32 v83, 0xb9fd, v67
	v_add_f16_e32 v57, v57, v58
	v_fmamk_f16 v58, v52, 0xbbf1, v80
	v_add_f16_e32 v59, v59, v54
	v_fmamk_f16 v60, v56, 0x388b, v82
	v_fmamk_f16 v61, v50, 0x394e, v83
	v_mul_f16_e32 v84, 0x2fb7, v68
	v_sub_f16_e32 v85, v41, v33
	v_add_f16_e32 v54, v58, v57
	v_add_f16_e32 v59, v60, v59
	;; [unrolled: 1-line block ×3, first 2 shown]
	v_fmamk_f16 v60, v47, 0xbbf1, v84
	v_mul_f16_e32 v86, 0x388b, v69
	v_add_f16_e32 v58, v7, v20
	v_mul_f16_e32 v87, 0xbb7b, v85
	v_sub_f16_e32 v88, v35, v34
	v_add_f16_e32 v60, v60, v57
	v_fmamk_f16 v61, v48, 0x3a95, v86
	v_mul_f16_e32 v89, 0xbbc4, v71
	v_fmamk_f16 v62, v58, 0xb5ac, v87
	v_add_f16_e32 v57, v24, v23
	v_mul_f16_e32 v90, 0x3bf1, v88
	v_add_f16_e32 v60, v61, v60
	v_fmamk_f16 v61, v46, 0xb3a8, v89
	v_mul_f16_e32 v91, 0x3b15, v72
	v_add_f16_e32 v59, v62, v59
	v_fmamk_f16 v62, v57, 0x2fb7, v90
	;; [unrolled: 3-line block ×23, first 2 shown]
	v_mul_f16_e32 v117, 0x3b15, v71
	v_add_f16_e32 v110, v111, v110
	v_mul_f16_e32 v111, 0xbbf1, v73
	v_fmamk_f16 v118, v58, 0xbbc4, v116
	v_add_f16_e32 v100, v114, v100
	v_fmamk_f16 v114, v46, 0xb770, v117
	v_mul_f16_e32 v119, 0x388b, v72
	v_fmamk_f16 v120, v51, 0x2fb7, v111
	v_mul_f16_e32 v121, 0xb3a8, v74
	v_add_f16_e32 v110, v118, v110
	v_add_f16_e32 v100, v114, v100
	v_fmamk_f16 v114, v49, 0x3a95, v119
	v_add_f16_e32 v118, v17, v120
	v_fmamk_f16 v120, v53, 0xbbc4, v121
	v_mul_f16_e32 v122, 0x3b7b, v77
	v_mul_f16_e32 v123, 0x3a95, v88
	v_add_f16_e32 v18, v18, v17
	v_add_f16_e32 v100, v114, v100
	;; [unrolled: 1-line block ×3, first 2 shown]
	v_fmamk_f16 v118, v55, 0xb5ac, v122
	v_mul_f16_e32 v120, 0xb9fd, v78
	v_add_f16_e32 v18, v21, v18
	v_mul_f16_e32 v21, 0x3770, v81
	v_fmamk_f16 v124, v57, 0x388b, v123
	v_add_f16_e32 v114, v118, v114
	v_fmamk_f16 v118, v52, 0x394e, v120
	v_add_f16_e32 v18, v22, v18
	v_fmamk_f16 v22, v56, 0x3b15, v21
	v_mul_f16_e32 v125, 0xba95, v85
	v_add_f16_e32 v110, v124, v110
	v_mul_f16_e32 v124, 0x388b, v67
	v_add_f16_e32 v45, v45, v40
	v_add_f16_e32 v100, v118, v100
	;; [unrolled: 1-line block ×3, first 2 shown]
	v_fmamk_f16 v114, v58, 0x388b, v125
	v_mul_f16_e32 v118, 0xb94e, v88
	v_fmamk_f16 v126, v50, 0x3a95, v124
	v_mul_f16_e32 v127, 0xb5ac, v68
	v_add_f16_e32 v18, v19, v18
	v_add_f16_e32 v42, v42, v45
	;; [unrolled: 1-line block ×3, first 2 shown]
	v_fmamk_f16 v22, v57, 0xb9fd, v118
	v_add_f16_e32 v114, v40, v126
	v_fmamk_f16 v126, v47, 0x3b7b, v127
	v_mul_f16_e32 v128, 0xbbc4, v69
	v_add_f16_e32 v18, v20, v18
	v_mul_f16_e32 v20, 0xba95, v73
	v_add_f16_e32 v42, v43, v42
	v_add_f16_e32 v19, v22, v19
	;; [unrolled: 1-line block ×3, first 2 shown]
	v_fmamk_f16 v114, v48, 0x33a8, v128
	v_mul_f16_e32 v126, 0xb9fd, v71
	v_add_f16_e32 v18, v23, v18
	v_fmamk_f16 v129, v51, 0x388b, v20
	v_mul_f16_e32 v130, 0xbb7b, v74
	v_add_f16_e32 v42, v44, v42
	v_add_f16_e32 v22, v114, v22
	v_fmamk_f16 v114, v46, 0xb94e, v126
	v_add_f16_e32 v18, v24, v18
	v_add_f16_e32 v24, v17, v129
	v_fmamk_f16 v129, v53, 0xb5ac, v130
	v_mul_f16_e32 v131, 0xb3a8, v77
	v_add_f16_e32 v41, v41, v42
	v_add_f16_e32 v22, v114, v22
	;; [unrolled: 1-line block ×3, first 2 shown]
	v_mul_f16_e32 v18, 0x2fb7, v72
	v_add_f16_e32 v24, v129, v24
	v_fmamk_f16 v114, v55, 0xbbc4, v131
	v_mul_f16_e32 v129, 0x394e, v81
	v_add_f16_e32 v35, v35, v41
	v_add_f16_e32 v7, v8, v7
	v_fmamk_f16 v8, v49, 0xbbf1, v18
	v_mul_f16_e32 v132, 0x3b15, v78
	v_add_f16_e32 v24, v114, v24
	v_fmamk_f16 v114, v56, 0xb9fd, v129
	v_mul_f16_e32 v133, 0x3bf1, v85
	v_add_f16_e32 v34, v34, v35
	v_add_f16_e32 v8, v8, v22
	v_mul_f16_e32 v22, 0x3b15, v67
	v_fmamk_f16 v67, v52, 0xb770, v132
	v_add_f16_e32 v24, v114, v24
	v_fmamk_f16 v114, v58, 0x2fb7, v133
	v_mul_f16_e32 v134, 0x3770, v88
	v_add_f16_e32 v33, v33, v34
	v_fmamk_f16 v135, v50, 0x3770, v22
	v_mul_f16_e32 v68, 0x388b, v68
	v_add_f16_e32 v8, v67, v8
	v_add_f16_e32 v24, v114, v24
	v_fmamk_f16 v67, v57, 0x3b15, v134
	v_add_f16_e32 v5, v5, v7
	v_add_f16_e32 v7, v32, v33
	;; [unrolled: 1-line block ×3, first 2 shown]
	v_fmamk_f16 v135, v47, 0x3a95, v68
	v_mul_f16_e32 v69, 0x2fb7, v69
	v_add_f16_e32 v24, v67, v24
	v_mul_f16_e32 v67, 0xb770, v73
	v_add_f16_e32 v5, v6, v5
	v_add_f16_e32 v6, v31, v7
	v_fma_f16 v7, v51, 0xbbc4, -v75
	v_add_f16_e32 v73, v135, v114
	v_fmamk_f16 v114, v48, 0x3bf1, v69
	v_mul_f16_e32 v45, 0xb5ac, v71
	v_fmamk_f16 v71, v51, 0x3b15, v67
	v_mul_f16_e32 v74, 0xba95, v74
	v_fmac_f16_e32 v70, 0xb3a8, v50
	v_add_f16_e32 v5, v29, v5
	v_add_f16_e32 v6, v30, v6
	v_add_f16_e32 v7, v17, v7
	v_fma_f16 v29, v53, 0x3b15, -v76
	v_add_f16_e32 v73, v114, v73
	v_add_f16_e32 v71, v17, v71
	v_fmamk_f16 v114, v53, 0x388b, v74
	v_mul_f16_e32 v77, 0xbbf1, v77
	v_add_f16_e32 v32, v40, v70
	v_fmac_f16_e32 v65, 0x3770, v47
	v_add_f16_sdwa v6, v23, v6 dst_sel:DWORD dst_unused:UNUSED_PAD src0_sel:WORD_1 src1_sel:DWORD
	v_add_f16_e32 v7, v29, v7
	v_fma_f16 v23, v55, 0xb9fd, -v79
	v_mul_f16_e32 v44, 0xb9fd, v72
	v_add_f16_e32 v71, v114, v71
	v_fmamk_f16 v72, v55, 0x2fb7, v77
	v_mul_f16_e32 v42, 0xbb7b, v81
	v_add_f16_e32 v31, v65, v32
	v_fmac_f16_e32 v66, 0xb94e, v48
	v_add_f16_e32 v7, v23, v7
	v_fma_f16 v23, v56, 0x388b, -v82
	v_add_f16_e32 v71, v72, v71
	v_fmamk_f16 v41, v56, 0xb5ac, v42
	v_mul_f16_e32 v72, 0xb94e, v85
	v_add_f16_e32 v30, v66, v31
	v_add_f16_e32 v7, v23, v7
	v_fma_f16 v23, v58, 0xb5ac, -v87
	v_fma_f16 v31, v51, 0xb9fd, -v92
	v_add_f16_e32 v35, v41, v71
	v_fmamk_f16 v41, v58, 0xb9fd, v72
	v_mul_f16_e32 v71, 0xb3a8, v88
	v_add_f16_e32 v7, v23, v7
	v_fma_f16 v23, v57, 0x2fb7, -v90
	v_add_f16_e32 v31, v17, v31
	v_fma_f16 v32, v53, 0x2fb7, -v94
	v_add_f16_e32 v34, v41, v35
	v_fmamk_f16 v35, v57, 0xbbc4, v71
	v_add_f16_e32 v7, v23, v7
	v_fmac_f16_e32 v63, 0x3a95, v46
	v_add_f16_e32 v23, v32, v31
	v_fma_f16 v31, v55, 0x388b, -v97
	v_add_f16_e32 v33, v35, v34
	v_fma_f16 v34, v51, 0xb5ac, -v106
	v_fma_f16 v35, v53, 0xb9fd, -v96
	v_add_f16_e32 v29, v63, v30
	v_add_f16_e32 v23, v31, v23
	v_fma_f16 v31, v56, 0xbbc4, -v99
	v_add_f16_e32 v34, v17, v34
	v_fmac_f16_e32 v64, 0xbb7b, v49
	v_fma_f16 v41, v58, 0xbbc4, -v116
	v_fma_f16 v63, v53, 0xbbc4, -v121
	v_add_f16_e32 v23, v31, v23
	v_fma_f16 v31, v58, 0x3b15, -v102
	v_add_f16_e32 v34, v35, v34
	v_fma_f16 v35, v55, 0x3b15, -v112
	v_fmac_f16_e32 v124, 0xba95, v50
	v_add_f16_e32 v29, v64, v29
	v_add_f16_e32 v23, v31, v23
	v_fma_f16 v31, v57, 0xb5ac, -v104
	v_fmac_f16_e32 v127, 0xbb7b, v47
	v_add_f16_e32 v64, v40, v124
	v_fma_f16 v21, v56, 0x3b15, -v21
	v_fmac_f16_e32 v128, 0xb3a8, v48
	v_add_f16_e32 v23, v31, v23
	v_add_f16_e32 v31, v35, v34
	v_fma_f16 v34, v56, 0x2fb7, -v113
	v_fmac_f16_e32 v126, 0x394e, v46
	v_fma_f16 v20, v51, 0x388b, -v20
	v_fmac_f16_e32 v18, 0x3bf1, v49
	v_fmac_f16_e32 v83, 0xb94e, v50
	v_add_f16_e32 v31, v34, v31
	v_fma_f16 v34, v51, 0x2fb7, -v111
	v_fmac_f16_e32 v95, 0xbb7b, v50
	v_fmac_f16_e32 v109, 0xbbf1, v50
	v_add_f16_e32 v20, v17, v20
	v_add_f16_e32 v31, v41, v31
	;; [unrolled: 1-line block ×3, first 2 shown]
	v_fma_f16 v41, v55, 0xb5ac, -v122
	v_fmac_f16_e32 v22, 0xb770, v50
	v_add_f16_e32 v30, v40, v83
	v_fmac_f16_e32 v84, 0x3bf1, v47
	v_add_f16_e32 v34, v63, v34
	v_add_f16_e32 v32, v40, v95
	v_fmac_f16_e32 v98, 0x394e, v47
	v_add_f16_e32 v35, v40, v109
	v_fmac_f16_e32 v107, 0xb3a8, v47
	v_add_f16_e32 v34, v41, v34
	v_add_f16_e32 v41, v127, v64
	;; [unrolled: 1-line block ×3, first 2 shown]
	v_fmac_f16_e32 v68, 0xba95, v47
	v_fma_f16 v40, v53, 0x388b, -v74
	v_add_f16_e32 v21, v21, v34
	v_fma_f16 v34, v58, 0x388b, -v125
	v_add_f16_e32 v41, v128, v41
	v_fmamk_f16 v43, v46, 0x3b7b, v45
	v_add_f16_e32 v30, v84, v30
	v_fmac_f16_e32 v86, 0xba95, v48
	v_add_f16_e32 v21, v34, v21
	v_fma_f16 v34, v57, 0xb9fd, -v118
	v_add_f16_e32 v41, v126, v41
	v_add_f16_e32 v32, v98, v32
	v_fmac_f16_e32 v101, 0x3770, v48
	v_add_f16_e32 v35, v107, v35
	v_add_f16_e32 v21, v34, v21
	v_fma_f16 v34, v53, 0xb5ac, -v130
	v_add_f16_e32 v18, v18, v41
	v_fma_f16 v41, v51, 0x3b15, -v67
	v_fmac_f16_e32 v115, 0x3b7b, v48
	v_add_f16_e32 v22, v68, v22
	v_add_f16_e32 v20, v34, v20
	v_fma_f16 v34, v55, 0xbbc4, -v131
	v_add_f16_e32 v17, v17, v41
	v_fmac_f16_e32 v69, 0xbbf1, v48
	v_add_f16_e32 v43, v43, v73
	v_fmamk_f16 v73, v49, 0x394e, v44
	v_add_f16_e32 v20, v34, v20
	v_fma_f16 v34, v56, 0xb9fd, -v129
	v_add_f16_e32 v17, v40, v17
	v_fma_f16 v40, v55, 0x2fb7, -v77
	v_mul_f16_e32 v78, 0xbbc4, v78
	v_add_f16_e32 v30, v86, v30
	v_fmac_f16_e32 v89, 0x33a8, v46
	v_add_f16_e32 v32, v101, v32
	v_fmac_f16_e32 v103, 0xbbf1, v46
	;; [unrolled: 2-line block ×3, first 2 shown]
	v_add_f16_e32 v20, v34, v20
	v_fma_f16 v34, v58, 0x2fb7, -v133
	v_add_f16_e32 v22, v69, v22
	v_fmac_f16_e32 v45, 0xbb7b, v46
	v_add_f16_e32 v17, v40, v17
	v_fma_f16 v40, v56, 0xb5ac, -v42
	v_add_f16_e32 v43, v73, v43
	v_fmamk_f16 v73, v52, 0x33a8, v78
	v_add_f16_e32 v30, v89, v30
	v_fmac_f16_e32 v91, 0x3770, v49
	v_add_f16_e32 v32, v103, v32
	v_fmac_f16_e32 v105, 0x33a8, v49
	;; [unrolled: 2-line block ×3, first 2 shown]
	v_add_f16_e32 v20, v34, v20
	v_add_f16_e32 v22, v45, v22
	v_fmac_f16_e32 v44, 0xb94e, v49
	v_add_f16_e32 v17, v40, v17
	v_fma_f16 v34, v58, 0xb9fd, -v72
	v_add_f16_e32 v43, v73, v43
	v_mov_b32_e32 v41, 2
	v_fmac_f16_e32 v80, 0x3bf1, v52
	v_add_f16_e32 v30, v91, v30
	v_fmac_f16_e32 v93, 0xbb7b, v52
	v_add_f16_e32 v32, v105, v32
	v_fmac_f16_e32 v108, 0x3a95, v52
	v_fma_f16 v63, v57, 0x388b, -v123
	v_add_f16_e32 v35, v119, v35
	v_fmac_f16_e32 v120, 0xb94e, v52
	v_fmac_f16_e32 v132, 0x3770, v52
	v_fma_f16 v40, v57, 0x3b15, -v134
	v_add_f16_e32 v22, v44, v22
	v_fmac_f16_e32 v78, 0xb3a8, v52
	v_add_f16_e32 v17, v34, v17
	v_fma_f16 v34, v57, 0xbbc4, -v71
	v_lshlrev_b32_sdwa v28, v41, v28 dst_sel:DWORD dst_unused:UNUSED_PAD src0_sel:DWORD src1_sel:WORD_0
	v_pack_b32_f16 v33, v33, v43
	v_pack_b32_f16 v5, v5, v6
	v_add_f16_e32 v29, v80, v29
	v_pack_b32_f16 v6, v19, v100
	v_pack_b32_f16 v8, v24, v8
	v_add_f16_e32 v30, v93, v30
	v_add_f16_e32 v32, v108, v32
	;; [unrolled: 1-line block ×8, first 2 shown]
	ds_write2_b32 v28, v5, v33 offset1:1
	ds_write2_b32 v28, v8, v6 offset0:2 offset1:3
	v_pack_b32_f16 v5, v61, v60
	v_pack_b32_f16 v6, v110, v62
	;; [unrolled: 1-line block ×9, first 2 shown]
	ds_write2_b32 v28, v6, v5 offset0:4 offset1:5
	ds_write2_b32 v28, v8, v7 offset0:6 offset1:7
	;; [unrolled: 1-line block ×4, first 2 shown]
	ds_write_b32 v28, v17 offset:48
.LBB0_13:
	s_or_b32 exec_lo, exec_lo, s0
	v_add_nc_u32_e32 v19, 0x200, v27
	v_add_nc_u32_e32 v20, 0x600, v27
	s_waitcnt lgkmcnt(0)
	s_barrier
	buffer_gl0_inv
	ds_read2_b32 v[5:6], v27 offset1:117
	ds_read2_b32 v[7:8], v19 offset0:106 offset1:223
	ds_read2_b32 v[17:18], v20 offset0:84 offset1:201
	s_waitcnt lgkmcnt(0)
	s_barrier
	buffer_gl0_inv
	v_lshrrev_b32_e32 v21, 16, v5
	v_lshrrev_b32_e32 v23, 16, v7
	v_lshrrev_b32_e32 v24, 16, v17
	v_mul_f16_sdwa v30, v9, v7 dst_sel:DWORD dst_unused:UNUSED_PAD src0_sel:WORD_1 src1_sel:DWORD
	v_lshrrev_b32_e32 v28, 16, v8
	v_lshrrev_b32_e32 v29, 16, v18
	v_mul_f16_sdwa v31, v10, v17 dst_sel:DWORD dst_unused:UNUSED_PAD src0_sel:WORD_1 src1_sel:DWORD
	v_mul_f16_sdwa v32, v11, v8 dst_sel:DWORD dst_unused:UNUSED_PAD src0_sel:WORD_1 src1_sel:DWORD
	;; [unrolled: 1-line block ×3, first 2 shown]
	v_fma_f16 v23, v9, v23, -v30
	v_mul_f16_sdwa v30, v10, v24 dst_sel:DWORD dst_unused:UNUSED_PAD src0_sel:WORD_1 src1_sel:DWORD
	v_mul_f16_sdwa v33, v12, v18 dst_sel:DWORD dst_unused:UNUSED_PAD src0_sel:WORD_1 src1_sel:DWORD
	v_fma_f16 v24, v10, v24, -v31
	v_mul_f16_sdwa v31, v11, v28 dst_sel:DWORD dst_unused:UNUSED_PAD src0_sel:WORD_1 src1_sel:DWORD
	v_fma_f16 v28, v11, v28, -v32
	v_mul_f16_sdwa v32, v12, v29 dst_sel:DWORD dst_unused:UNUSED_PAD src0_sel:WORD_1 src1_sel:DWORD
	v_fmac_f16_e32 v34, v9, v7
	v_fmac_f16_e32 v30, v10, v17
	v_fma_f16 v29, v12, v29, -v33
	v_fmac_f16_e32 v31, v11, v8
	v_fmac_f16_e32 v32, v12, v18
	v_add_f16_e32 v8, v21, v23
	v_add_f16_e32 v9, v23, v24
	;; [unrolled: 1-line block ×3, first 2 shown]
	v_lshrrev_b32_e32 v22, 16, v6
	v_sub_f16_e32 v7, v23, v24
	v_add_f16_e32 v12, v28, v29
	v_add_f16_e32 v17, v5, v34
	;; [unrolled: 1-line block ×3, first 2 shown]
	v_fmac_f16_e32 v21, -0.5, v9
	v_sub_f16_e32 v9, v34, v30
	v_add_f16_e32 v24, v31, v32
	v_fma_f16 v5, -0.5, v18, v5
	v_sub_f16_e32 v10, v28, v29
	v_add_f16_e32 v11, v22, v28
	v_add_f16_e32 v23, v6, v31
	v_fmac_f16_e32 v22, -0.5, v12
	v_add_f16_e32 v12, v17, v30
	v_fmamk_f16 v17, v9, 0x3aee, v21
	v_fmac_f16_e32 v21, 0xbaee, v9
	v_fmac_f16_e32 v6, -0.5, v24
	v_fmamk_f16 v9, v7, 0xbaee, v5
	v_fmac_f16_e32 v5, 0x3aee, v7
	v_sub_f16_e32 v7, v31, v32
	v_add_f16_e32 v18, v23, v32
	v_fmamk_f16 v23, v10, 0xbaee, v6
	v_fmac_f16_e32 v6, 0x3aee, v10
	v_add_f16_e32 v10, v11, v29
	v_fmamk_f16 v11, v7, 0x3aee, v22
	v_fmac_f16_e32 v22, 0xbaee, v7
	v_pack_b32_f16 v7, v12, v8
	v_pack_b32_f16 v8, v9, v17
	;; [unrolled: 1-line block ×6, first 2 shown]
	ds_write2_b32 v36, v7, v8 offset1:13
	ds_write_b32 v36, v5 offset:104
	ds_write2_b32 v37, v9, v10 offset1:13
	ds_write_b32 v37, v6 offset:104
	s_waitcnt lgkmcnt(0)
	s_barrier
	buffer_gl0_inv
	ds_read2_b32 v[5:6], v27 offset1:117
	ds_read2_b32 v[7:8], v19 offset0:106 offset1:223
	ds_read2_b32 v[9:10], v20 offset0:84 offset1:201
	s_waitcnt lgkmcnt(0)
	s_barrier
	buffer_gl0_inv
	v_lshrrev_b32_e32 v12, 16, v6
	v_lshrrev_b32_e32 v17, 16, v7
	;; [unrolled: 1-line block ×3, first 2 shown]
	v_mul_f16_sdwa v22, v0, v6 dst_sel:DWORD dst_unused:UNUSED_PAD src0_sel:WORD_1 src1_sel:DWORD
	v_lshrrev_b32_e32 v18, 16, v8
	v_mul_f16_sdwa v24, v0, v12 dst_sel:DWORD dst_unused:UNUSED_PAD src0_sel:WORD_1 src1_sel:DWORD
	v_mul_f16_sdwa v28, v1, v17 dst_sel:DWORD dst_unused:UNUSED_PAD src0_sel:WORD_1 src1_sel:DWORD
	v_lshrrev_b32_e32 v23, 16, v10
	v_fma_f16 v12, v0, v12, -v22
	v_mul_f16_sdwa v29, v1, v7 dst_sel:DWORD dst_unused:UNUSED_PAD src0_sel:WORD_1 src1_sel:DWORD
	v_fmac_f16_e32 v24, v0, v6
	v_mul_f16_sdwa v0, v3, v21 dst_sel:DWORD dst_unused:UNUSED_PAD src0_sel:WORD_1 src1_sel:DWORD
	v_mul_f16_sdwa v22, v2, v18 dst_sel:DWORD dst_unused:UNUSED_PAD src0_sel:WORD_1 src1_sel:DWORD
	v_fmac_f16_e32 v28, v1, v7
	v_mul_f16_sdwa v6, v2, v8 dst_sel:DWORD dst_unused:UNUSED_PAD src0_sel:WORD_1 src1_sel:DWORD
	v_mul_f16_sdwa v7, v3, v9 dst_sel:DWORD dst_unused:UNUSED_PAD src0_sel:WORD_1 src1_sel:DWORD
	v_fmac_f16_e32 v0, v3, v9
	v_fma_f16 v1, v1, v17, -v29
	v_fmac_f16_e32 v22, v2, v8
	v_mul_f16_sdwa v8, v38, v23 dst_sel:DWORD dst_unused:UNUSED_PAD src0_sel:WORD_1 src1_sel:DWORD
	v_fma_f16 v2, v2, v18, -v6
	v_mul_f16_sdwa v6, v38, v10 dst_sel:DWORD dst_unused:UNUSED_PAD src0_sel:WORD_1 src1_sel:DWORD
	v_fma_f16 v3, v3, v21, -v7
	v_add_f16_e32 v7, v28, v0
	v_lshrrev_b32_e32 v11, 16, v5
	v_fmac_f16_e32 v8, v38, v10
	v_add_f16_e32 v9, v5, v28
	v_fma_f16 v6, v38, v23, -v6
	v_add_f16_e32 v10, v1, v3
	v_fmac_f16_e32 v5, -0.5, v7
	v_sub_f16_e32 v7, v1, v3
	v_add_f16_e32 v1, v11, v1
	v_add_f16_e32 v9, v9, v0
	v_fmac_f16_e32 v11, -0.5, v10
	v_sub_f16_e32 v0, v28, v0
	v_fmamk_f16 v10, v7, 0xbaee, v5
	v_fmac_f16_e32 v5, 0x3aee, v7
	v_add_f16_e32 v7, v2, v6
	v_add_f16_e32 v17, v22, v8
	;; [unrolled: 1-line block ×4, first 2 shown]
	v_fmamk_f16 v3, v0, 0x3aee, v11
	v_fmac_f16_e32 v12, -0.5, v7
	v_sub_f16_e32 v7, v22, v8
	v_add_f16_e32 v21, v24, v22
	v_fmac_f16_e32 v24, -0.5, v17
	v_sub_f16_e32 v2, v2, v6
	v_fmac_f16_e32 v11, 0xbaee, v0
	v_fmamk_f16 v0, v7, 0x3aee, v12
	v_fmac_f16_e32 v12, 0xbaee, v7
	v_add_f16_e32 v7, v21, v8
	v_fmamk_f16 v8, v2, 0xbaee, v24
	v_fmac_f16_e32 v24, 0x3aee, v2
	v_mul_f16_e32 v2, 0xbaee, v0
	v_mul_f16_e32 v0, 0.5, v0
	v_mul_f16_e32 v17, 0xbaee, v12
	v_mul_f16_e32 v12, -0.5, v12
	v_add_f16_e32 v6, v18, v6
	v_fmac_f16_e32 v2, 0.5, v8
	v_fmac_f16_e32 v0, 0x3aee, v8
	v_fmac_f16_e32 v17, -0.5, v24
	v_fmac_f16_e32 v12, 0x3aee, v24
	v_add_f16_e32 v18, v9, v7
	v_add_f16_e32 v8, v10, v2
	v_add_f16_e32 v22, v1, v6
	v_add_f16_e32 v23, v3, v0
	v_add_f16_e32 v21, v5, v17
	v_add_f16_e32 v24, v11, v12
	v_sub_f16_e32 v7, v9, v7
	v_sub_f16_e32 v1, v1, v6
	;; [unrolled: 1-line block ×6, first 2 shown]
	v_pack_b32_f16 v6, v18, v22
	v_pack_b32_f16 v8, v8, v23
	;; [unrolled: 1-line block ×6, first 2 shown]
	ds_write2_b32 v39, v6, v8 offset1:39
	ds_write2_b32 v39, v9, v1 offset0:78 offset1:117
	ds_write2_b32 v39, v0, v2 offset0:156 offset1:195
	s_waitcnt lgkmcnt(0)
	s_barrier
	buffer_gl0_inv
	ds_read2_b32 v[0:1], v19 offset0:106 offset1:223
	ds_read2_b32 v[2:3], v27 offset1:117
	ds_read2_b32 v[5:6], v20 offset0:84 offset1:201
	s_waitcnt lgkmcnt(2)
	v_lshrrev_b32_e32 v7, 16, v0
	v_lshrrev_b32_e32 v12, 16, v1
	s_waitcnt lgkmcnt(0)
	v_lshrrev_b32_e32 v9, 16, v5
	v_mul_f16_sdwa v17, v15, v0 dst_sel:DWORD dst_unused:UNUSED_PAD src0_sel:WORD_1 src1_sel:DWORD
	v_lshrrev_b32_e32 v18, 16, v6
	v_mul_f16_sdwa v11, v15, v7 dst_sel:DWORD dst_unused:UNUSED_PAD src0_sel:WORD_1 src1_sel:DWORD
	;; [unrolled: 2-line block ×3, first 2 shown]
	v_fma_f16 v7, v15, v7, -v17
	v_lshrrev_b32_e32 v10, 16, v3
	v_fmac_f16_e32 v11, v15, v0
	v_mul_f16_sdwa v0, v16, v5 dst_sel:DWORD dst_unused:UNUSED_PAD src0_sel:WORD_1 src1_sel:DWORD
	v_fmac_f16_e32 v21, v16, v5
	v_mul_f16_sdwa v5, v13, v1 dst_sel:DWORD dst_unused:UNUSED_PAD src0_sel:WORD_1 src1_sel:DWORD
	v_mul_f16_sdwa v15, v13, v12 dst_sel:DWORD dst_unused:UNUSED_PAD src0_sel:WORD_1 src1_sel:DWORD
	v_fma_f16 v0, v16, v9, -v0
	v_mul_f16_sdwa v9, v14, v18 dst_sel:DWORD dst_unused:UNUSED_PAD src0_sel:WORD_1 src1_sel:DWORD
	v_fma_f16 v5, v13, v12, -v5
	v_add_f16_e32 v12, v11, v21
	v_fmac_f16_e32 v15, v13, v1
	v_mul_f16_sdwa v1, v14, v6 dst_sel:DWORD dst_unused:UNUSED_PAD src0_sel:WORD_1 src1_sel:DWORD
	v_add_f16_e32 v13, v7, v0
	v_fmac_f16_e32 v9, v14, v6
	v_add_f16_e32 v6, v2, v11
	v_fma_f16 v2, -0.5, v12, v2
	v_sub_f16_e32 v12, v7, v0
	v_add_f16_e32 v7, v8, v7
	v_fma_f16 v1, v14, v18, -v1
	v_fmac_f16_e32 v8, -0.5, v13
	v_sub_f16_e32 v11, v11, v21
	v_fmamk_f16 v13, v12, 0xbaee, v2
	v_add_f16_e32 v0, v7, v0
	v_add_f16_e32 v7, v15, v9
	v_fmac_f16_e32 v2, 0x3aee, v12
	v_fmamk_f16 v12, v11, 0x3aee, v8
	v_fmac_f16_e32 v8, 0xbaee, v11
	v_add_f16_e32 v11, v5, v1
	v_add_f16_e32 v14, v3, v15
	v_fmac_f16_e32 v3, -0.5, v7
	v_sub_f16_e32 v7, v5, v1
	v_add_f16_e32 v5, v10, v5
	v_fmac_f16_e32 v10, -0.5, v11
	v_sub_f16_e32 v11, v15, v9
	v_add_f16_e32 v6, v6, v21
	v_add_f16_e32 v9, v14, v9
	;; [unrolled: 1-line block ×3, first 2 shown]
	v_fmamk_f16 v14, v7, 0xbaee, v3
	v_fmamk_f16 v5, v11, 0x3aee, v10
	v_fmac_f16_e32 v3, 0x3aee, v7
	v_fmac_f16_e32 v10, 0xbaee, v11
	v_pack_b32_f16 v0, v6, v0
	v_pack_b32_f16 v1, v9, v1
	;; [unrolled: 1-line block ×6, first 2 shown]
	ds_write2_b32 v27, v0, v1 offset1:117
	ds_write2_b32 v19, v6, v5 offset0:106 offset1:223
	ds_write2_b32 v20, v2, v3 offset0:84 offset1:201
	s_waitcnt lgkmcnt(0)
	s_barrier
	buffer_gl0_inv
	s_and_b32 exec_lo, exec_lo, vcc_lo
	s_cbranch_execz .LBB0_15
; %bb.14:
	s_clause 0x5
	global_load_dword v13, v25, s[10:11]
	global_load_dword v15, v25, s[10:11] offset:216
	global_load_dword v17, v25, s[10:11] offset:432
	global_load_dword v19, v25, s[10:11] offset:648
	global_load_dword v21, v25, s[10:11] offset:864
	global_load_dword v23, v25, s[10:11] offset:1080
	ds_read_b32 v24, v27
	v_mad_u64_u32 v[7:8], null, s6, v4, 0
	v_mad_u64_u32 v[9:10], null, s4, v26, 0
	ds_read2_b32 v[5:6], v25 offset0:54 offset1:108
	ds_read2_b32 v[2:3], v25 offset0:162 offset1:216
	v_add_nc_u32_e32 v14, 0x400, v25
	v_add_co_u32 v0, s0, s10, v25
	s_mov_b32 s18, 0xc201756d
	v_mad_u64_u32 v[27:28], null, s7, v4, v[8:9]
	v_mad_u64_u32 v[10:11], null, s5, v26, v[10:11]
	s_clause 0x3
	global_load_dword v26, v25, s[10:11] offset:1296
	global_load_dword v22, v25, s[10:11] offset:1512
	;; [unrolled: 1-line block ×4, first 2 shown]
	ds_read2_b32 v[11:12], v14 offset0:14 offset1:68
	v_add_co_ci_u32_e64 v1, null, s11, 0, s0
	v_mov_b32_e32 v8, v27
	s_waitcnt lgkmcnt(3)
	v_lshrrev_b32_e32 v27, 16, v24
	s_mov_b32 s19, 0x3f5756ca
	v_add_co_u32 v0, vcc_lo, 0x800, v0
	v_lshlrev_b64 v[7:8], 2, v[7:8]
	s_waitcnt lgkmcnt(2)
	v_lshrrev_b32_e32 v28, 16, v5
	v_lshrrev_b32_e32 v29, 16, v6
	s_waitcnt lgkmcnt(1)
	v_lshrrev_b32_e32 v30, 16, v2
	v_lshrrev_b32_e32 v31, 16, v3
	v_add_co_ci_u32_e32 v1, vcc_lo, 0, v1, vcc_lo
	v_lshlrev_b64 v[9:10], 2, v[9:10]
	v_add_co_u32 v7, vcc_lo, s8, v7
	v_add_co_ci_u32_e32 v8, vcc_lo, s9, v8, vcc_lo
	s_waitcnt lgkmcnt(0)
	v_lshrrev_b32_e32 v45, 16, v11
	v_add_co_u32 v7, vcc_lo, v7, v9
	v_add_co_ci_u32_e32 v8, vcc_lo, v8, v10, vcc_lo
	s_mul_i32 s0, s5, 0xd8
	s_mul_hi_u32 s20, s4, 0xd8
	s_mul_i32 s17, s4, 0xd8
	s_add_i32 s20, s20, s0
	v_add_co_u32 v9, vcc_lo, v7, s17
	v_add_co_ci_u32_e32 v10, vcc_lo, s20, v8, vcc_lo
	s_clause 0x1
	global_load_dword v4, v[0:1], off offset:112
	global_load_dword v16, v[0:1], off offset:328
	s_waitcnt vmcnt(11)
	v_mul_f16_sdwa v32, v27, v13 dst_sel:DWORD dst_unused:UNUSED_PAD src0_sel:DWORD src1_sel:WORD_1
	v_mul_f16_sdwa v33, v24, v13 dst_sel:DWORD dst_unused:UNUSED_PAD src0_sel:DWORD src1_sel:WORD_1
	s_waitcnt vmcnt(10)
	v_mul_f16_sdwa v34, v28, v15 dst_sel:DWORD dst_unused:UNUSED_PAD src0_sel:DWORD src1_sel:WORD_1
	v_mul_f16_sdwa v35, v5, v15 dst_sel:DWORD dst_unused:UNUSED_PAD src0_sel:DWORD src1_sel:WORD_1
	s_waitcnt vmcnt(9)
	v_mul_f16_sdwa v36, v29, v17 dst_sel:DWORD dst_unused:UNUSED_PAD src0_sel:DWORD src1_sel:WORD_1
	v_fmac_f16_e32 v32, v24, v13
	s_waitcnt vmcnt(8)
	v_mul_f16_sdwa v38, v30, v19 dst_sel:DWORD dst_unused:UNUSED_PAD src0_sel:DWORD src1_sel:WORD_1
	s_waitcnt vmcnt(7)
	v_mul_f16_sdwa v40, v31, v21 dst_sel:DWORD dst_unused:UNUSED_PAD src0_sel:DWORD src1_sel:WORD_1
	v_fma_f16 v13, v13, v27, -v33
	v_fmac_f16_e32 v34, v5, v15
	v_cvt_f32_f16_e32 v5, v32
	v_mul_f16_sdwa v37, v6, v17 dst_sel:DWORD dst_unused:UNUSED_PAD src0_sel:DWORD src1_sel:WORD_1
	v_mul_f16_sdwa v39, v2, v19 dst_sel:DWORD dst_unused:UNUSED_PAD src0_sel:DWORD src1_sel:WORD_1
	;; [unrolled: 1-line block ×3, first 2 shown]
	v_fmac_f16_e32 v36, v6, v17
	v_fmac_f16_e32 v38, v2, v19
	v_cvt_f32_f16_e32 v6, v13
	v_fmac_f16_e32 v40, v3, v21
	v_cvt_f64_f32_e32 v[2:3], v5
	v_fma_f16 v15, v15, v28, -v35
	v_fma_f16 v13, v19, v30, -v39
	;; [unrolled: 1-line block ×3, first 2 shown]
	v_cvt_f64_f32_e32 v[5:6], v6
	v_cvt_f32_f16_e32 v21, v34
	s_waitcnt vmcnt(6)
	v_mul_f16_sdwa v42, v45, v23 dst_sel:DWORD dst_unused:UNUSED_PAD src0_sel:DWORD src1_sel:WORD_1
	v_cvt_f32_f16_e32 v15, v15
	v_mul_f16_sdwa v46, v11, v23 dst_sel:DWORD dst_unused:UNUSED_PAD src0_sel:DWORD src1_sel:WORD_1
	v_fma_f16 v17, v17, v29, -v37
	v_cvt_f64_f32_e32 v[27:28], v21
	v_fmac_f16_e32 v42, v11, v23
	v_cvt_f32_f16_e32 v11, v36
	v_cvt_f64_f32_e32 v[29:30], v15
	v_cvt_f32_f16_e32 v17, v17
	v_cvt_f32_f16_e32 v15, v38
	;; [unrolled: 1-line block ×3, first 2 shown]
	v_cvt_f64_f32_e32 v[31:32], v11
	v_cvt_f32_f16_e32 v21, v40
	v_cvt_f64_f32_e32 v[33:34], v17
	v_cvt_f64_f32_e32 v[35:36], v15
	;; [unrolled: 1-line block ×3, first 2 shown]
	v_mul_f64 v[2:3], v[2:3], s[18:19]
	v_cvt_f32_f16_e32 v24, v42
	v_cvt_f32_f16_e32 v19, v19
	v_cvt_f64_f32_e32 v[39:40], v21
	v_mul_f64 v[5:6], v[5:6], s[18:19]
	v_fma_f16 v11, v23, v45, -v46
	v_add_co_u32 v23, vcc_lo, v9, s17
	v_cvt_f64_f32_e32 v[43:44], v24
	v_add_co_ci_u32_e32 v24, vcc_lo, s20, v10, vcc_lo
	v_mul_f64 v[27:28], v[27:28], s[18:19]
	v_cvt_f64_f32_e32 v[41:42], v19
	v_mul_f64 v[29:30], v[29:30], s[18:19]
	v_add_co_u32 v45, vcc_lo, v23, s17
	v_add_co_ci_u32_e32 v46, vcc_lo, s20, v24, vcc_lo
	v_mul_f64 v[31:32], v[31:32], s[18:19]
	v_mul_f64 v[33:34], v[33:34], s[18:19]
	;; [unrolled: 1-line block ×4, first 2 shown]
	v_and_or_b32 v2, 0x1ff, v3, v2
	v_cvt_f32_f16_e32 v11, v11
	v_bfe_u32 v13, v3, 20, 11
	v_mul_f64 v[39:40], v[39:40], s[18:19]
	v_and_or_b32 v5, 0x1ff, v6, v5
	v_cmp_ne_u32_e32 vcc_lo, 0, v2
	v_cvt_f64_f32_e32 v[47:48], v11
	v_lshrrev_b32_e32 v11, 8, v3
	v_mul_f64 v[43:44], v[43:44], s[18:19]
	v_lshrrev_b32_e32 v15, 8, v6
	v_cndmask_b32_e64 v2, 0, 1, vcc_lo
	v_and_or_b32 v19, 0x1ff, v28, v27
	v_cmp_ne_u32_e32 vcc_lo, 0, v5
	v_and_or_b32 v29, 0x1ff, v30, v29
	v_mul_f64 v[41:42], v[41:42], s[18:19]
	v_bfe_u32 v17, v6, 20, 11
	v_and_or_b32 v2, 0xffe, v11, v2
	v_cndmask_b32_e64 v5, 0, 1, vcc_lo
	v_cmp_ne_u32_e32 vcc_lo, 0, v19
	v_and_or_b32 v31, 0x1ff, v32, v31
	v_and_or_b32 v33, 0x1ff, v34, v33
	;; [unrolled: 1-line block ×4, first 2 shown]
	v_cndmask_b32_e64 v19, 0, 1, vcc_lo
	v_cmp_ne_u32_e32 vcc_lo, 0, v29
	v_and_or_b32 v39, 0x1ff, v40, v39
	v_lshrrev_b32_e32 v21, 8, v28
	v_bfe_u32 v27, v28, 20, 11
	v_bfe_u32 v50, v30, 20, 11
	v_cndmask_b32_e64 v29, 0, 1, vcc_lo
	v_cmp_ne_u32_e32 vcc_lo, 0, v31
	v_and_or_b32 v43, 0x1ff, v44, v43
	v_sub_nc_u32_e32 v64, 0x3f1, v13
	v_add_nc_u32_e32 v13, 0xfffffc10, v13
	v_sub_nc_u32_e32 v65, 0x3f1, v17
	v_cndmask_b32_e64 v31, 0, 1, vcc_lo
	v_cmp_ne_u32_e32 vcc_lo, 0, v33
	v_and_or_b32 v41, 0x1ff, v42, v41
	v_and_or_b32 v5, 0xffe, v15, v5
	v_lshrrev_b32_e32 v49, 8, v30
	v_bfe_u32 v52, v32, 20, 11
	v_cndmask_b32_e64 v33, 0, 1, vcc_lo
	v_cmp_ne_u32_e32 vcc_lo, 0, v35
	v_bfe_u32 v54, v34, 20, 11
	v_add_nc_u32_e32 v17, 0xfffffc10, v17
	v_sub_nc_u32_e32 v66, 0x3f1, v27
	v_sub_nc_u32_e32 v67, 0x3f1, v50
	v_cndmask_b32_e64 v35, 0, 1, vcc_lo
	v_cmp_ne_u32_e32 vcc_lo, 0, v37
	v_med3_i32 v11, v64, 0, 13
	v_med3_i32 v15, v65, 0, 13
	v_and_or_b32 v19, 0xffe, v21, v19
	v_or_b32_e32 v64, 0x1000, v2
	v_cndmask_b32_e64 v37, 0, 1, vcc_lo
	v_cmp_ne_u32_e32 vcc_lo, 0, v39
	v_lshl_or_b32 v65, v13, 12, v2
	v_lshrrev_b32_e32 v51, 8, v32
	v_lshrrev_b32_e32 v53, 8, v34
	v_bfe_u32 v56, v36, 20, 11
	v_cndmask_b32_e64 v39, 0, 1, vcc_lo
	v_cmp_ne_u32_e32 vcc_lo, 0, v41
	v_bfe_u32 v58, v38, 20, 11
	v_add_nc_u32_e32 v27, 0xfffffc10, v27
	v_sub_nc_u32_e32 v68, 0x3f1, v52
	v_sub_nc_u32_e32 v69, 0x3f1, v54
	v_cndmask_b32_e64 v41, 0, 1, vcc_lo
	v_cmp_ne_u32_e32 vcc_lo, 0, v43
	v_med3_i32 v21, v66, 0, 13
	v_and_or_b32 v29, 0xffe, v49, v29
	v_med3_i32 v49, v67, 0, 13
	v_or_b32_e32 v66, 0x1000, v5
	v_cndmask_b32_e64 v43, 0, 1, vcc_lo
	v_cmp_ne_u32_e32 vcc_lo, 0, v2
	v_lshl_or_b32 v67, v17, 12, v5
	v_lshrrev_b32_e32 v55, 8, v36
	v_lshrrev_b32_e32 v57, 8, v38
	v_bfe_u32 v60, v40, 20, 11
	v_cndmask_b32_e64 v2, 0, 1, vcc_lo
	v_cmp_ne_u32_e32 vcc_lo, 0, v5
	v_bfe_u32 v62, v42, 20, 11
	v_add_nc_u32_e32 v50, 0xfffffc10, v50
	v_sub_nc_u32_e32 v70, 0x3f1, v56
	v_sub_nc_u32_e32 v71, 0x3f1, v58
	v_cndmask_b32_e64 v5, 0, 1, vcc_lo
	v_cmp_ne_u32_e32 vcc_lo, 0, v19
	v_and_or_b32 v31, 0xffe, v51, v31
	v_med3_i32 v51, v68, 0, 13
	v_and_or_b32 v33, 0xffe, v53, v33
	v_med3_i32 v53, v69, 0, 13
	v_or_b32_e32 v68, 0x1000, v19
	v_lshl_or_b32 v69, v27, 12, v19
	v_cndmask_b32_e64 v19, 0, 1, vcc_lo
	v_cmp_ne_u32_e32 vcc_lo, 0, v29
	v_lshrrev_b32_e32 v59, 8, v40
	v_lshrrev_b32_e32 v61, 8, v42
	v_add_nc_u32_e32 v52, 0xfffffc10, v52
	v_sub_nc_u32_e32 v72, 0x3f1, v60
	v_sub_nc_u32_e32 v73, 0x3f1, v62
	v_and_or_b32 v35, 0xffe, v55, v35
	v_med3_i32 v55, v70, 0, 13
	v_and_or_b32 v37, 0xffe, v57, v37
	v_med3_i32 v57, v71, 0, 13
	v_or_b32_e32 v70, 0x1000, v29
	v_lshl_or_b32 v71, v50, 12, v29
	v_cndmask_b32_e64 v29, 0, 1, vcc_lo
	v_cmp_ne_u32_e32 vcc_lo, 0, v31
	v_add_nc_u32_e32 v54, 0xfffffc10, v54
	v_and_or_b32 v39, 0xffe, v59, v39
	v_med3_i32 v59, v72, 0, 13
	v_and_or_b32 v41, 0xffe, v61, v41
	v_med3_i32 v61, v73, 0, 13
	v_or_b32_e32 v72, 0x1000, v31
	v_lshl_or_b32 v73, v52, 12, v31
	v_cndmask_b32_e64 v31, 0, 1, vcc_lo
	v_cmp_ne_u32_e32 vcc_lo, 0, v33
	v_add_nc_u32_e32 v56, 0xfffffc10, v56
	v_or_b32_e32 v74, 0x1000, v33
	v_lshl_or_b32 v75, v54, 12, v33
	v_add_nc_u32_e32 v58, 0xfffffc10, v58
	v_cndmask_b32_e64 v33, 0, 1, vcc_lo
	v_cmp_ne_u32_e32 vcc_lo, 0, v35
	v_or_b32_e32 v76, 0x1000, v35
	v_lshl_or_b32 v77, v56, 12, v35
	v_lshrrev_b32_e32 v84, v11, v64
	v_add_nc_u32_e32 v60, 0xfffffc10, v60
	v_cndmask_b32_e64 v35, 0, 1, vcc_lo
	v_cmp_ne_u32_e32 vcc_lo, 0, v37
	v_or_b32_e32 v78, 0x1000, v37
	v_lshl_or_b32 v79, v58, 12, v37
	v_lshrrev_b32_e32 v85, v15, v66
	v_lshlrev_b32_e32 v11, v11, v84
	v_cndmask_b32_e64 v37, 0, 1, vcc_lo
	v_cmp_ne_u32_e32 vcc_lo, 0, v39
	v_or_b32_e32 v80, 0x1000, v39
	v_lshl_or_b32 v81, v60, 12, v39
	v_lshrrev_b32_e32 v86, v21, v68
	v_lshlrev_b32_e32 v15, v15, v85
	v_cndmask_b32_e64 v39, 0, 1, vcc_lo
	v_cmp_ne_u32_e32 vcc_lo, v11, v64
	v_lshrrev_b32_e32 v87, v49, v70
	v_lshlrev_b32_e32 v21, v21, v86
	v_lshrrev_b32_e32 v88, v51, v72
	v_lshrrev_b32_e32 v89, v53, v74
	v_cndmask_b32_e64 v11, 0, 1, vcc_lo
	v_cmp_ne_u32_e32 vcc_lo, v15, v66
	v_lshlrev_b32_e32 v49, v49, v87
	v_lshlrev_b32_e32 v51, v51, v88
	v_lshrrev_b32_e32 v90, v55, v76
	v_lshlrev_b32_e32 v53, v53, v89
	v_cndmask_b32_e64 v15, 0, 1, vcc_lo
	v_cmp_ne_u32_e32 vcc_lo, v21, v68
	v_lshrrev_b32_e32 v91, v57, v78
	v_lshlrev_b32_e32 v55, v55, v90
	v_or_b32_e32 v82, 0x1000, v41
	v_lshrrev_b32_e32 v92, v59, v80
	v_cndmask_b32_e64 v21, 0, 1, vcc_lo
	v_cmp_ne_u32_e32 vcc_lo, v49, v70
	v_lshlrev_b32_e32 v57, v57, v91
	v_lshrrev_b32_e32 v93, v61, v82
	v_lshlrev_b32_e32 v59, v59, v92
	v_or_b32_e32 v11, v84, v11
	v_cndmask_b32_e64 v49, 0, 1, vcc_lo
	v_cmp_ne_u32_e32 vcc_lo, v51, v72
	v_lshlrev_b32_e32 v61, v61, v93
	v_or_b32_e32 v15, v85, v15
	v_or_b32_e32 v21, v86, v21
	;; [unrolled: 1-line block ×3, first 2 shown]
	v_cndmask_b32_e64 v51, 0, 1, vcc_lo
	v_cmp_ne_u32_e32 vcc_lo, v53, v74
	v_add_nc_u32_e32 v62, 0xfffffc10, v62
	v_lshl_or_b32 v2, v2, 9, 0x7c00
	v_lshl_or_b32 v5, v5, 9, 0x7c00
	v_or_b32_e32 v51, v88, v51
	v_cndmask_b32_e64 v53, 0, 1, vcc_lo
	v_cmp_ne_u32_e32 vcc_lo, v55, v76
	v_lshl_or_b32 v83, v62, 12, v41
	v_lshl_or_b32 v19, v19, 9, 0x7c00
	v_lshl_or_b32 v29, v29, 9, 0x7c00
	v_or_b32_e32 v53, v89, v53
	v_cndmask_b32_e64 v55, 0, 1, vcc_lo
	v_cmp_ne_u32_e32 vcc_lo, v57, v78
	v_lshl_or_b32 v31, v31, 9, 0x7c00
	v_lshl_or_b32 v33, v33, 9, 0x7c00
	v_lshrrev_b32_e32 v3, 16, v3
	v_or_b32_e32 v55, v90, v55
	v_cndmask_b32_e64 v57, 0, 1, vcc_lo
	v_cmp_ne_u32_e32 vcc_lo, v59, v80
	v_lshrrev_b32_e32 v6, 16, v6
	v_lshrrev_b32_e32 v28, 16, v28
	v_lshl_or_b32 v35, v35, 9, 0x7c00
	v_or_b32_e32 v57, v91, v57
	v_cndmask_b32_e64 v59, 0, 1, vcc_lo
	v_cmp_ne_u32_e32 vcc_lo, v61, v82
	v_lshrrev_b32_e32 v30, 16, v30
	v_lshl_or_b32 v37, v37, 9, 0x7c00
	v_lshrrev_b32_e32 v32, 16, v32
	v_or_b32_e32 v59, v92, v59
	v_cndmask_b32_e64 v61, 0, 1, vcc_lo
	v_cmp_gt_i32_e32 vcc_lo, 1, v13
	v_lshrrev_b32_e32 v36, 16, v36
	v_lshrrev_b32_e32 v34, 16, v34
	;; [unrolled: 1-line block ×3, first 2 shown]
	v_or_b32_e32 v61, v93, v61
	v_cndmask_b32_e32 v11, v65, v11, vcc_lo
	v_cmp_gt_i32_e32 vcc_lo, 1, v17
	v_lshl_or_b32 v39, v39, 9, 0x7c00
	v_lshrrev_b32_e32 v63, 8, v44
	v_and_b32_e32 v64, 7, v11
	v_cndmask_b32_e32 v15, v67, v15, vcc_lo
	v_cmp_gt_i32_e32 vcc_lo, 1, v27
	v_lshrrev_b32_e32 v11, 2, v11
	v_cmp_eq_u32_e64 s0, 3, v64
	v_and_b32_e32 v65, 7, v15
	v_cndmask_b32_e32 v21, v69, v21, vcc_lo
	v_cmp_gt_i32_e32 vcc_lo, 1, v50
	v_lshrrev_b32_e32 v15, 2, v15
	v_cmp_lt_i32_e64 s1, 5, v65
	v_and_b32_e32 v66, 7, v21
	v_cndmask_b32_e32 v49, v71, v49, vcc_lo
	v_cmp_gt_i32_e32 vcc_lo, 1, v52
	v_cmp_eq_u32_e64 s2, 3, v65
	v_lshrrev_b32_e32 v21, 2, v21
	v_cmp_lt_i32_e64 s3, 5, v66
	v_and_b32_e32 v67, 7, v49
	v_cndmask_b32_e32 v51, v73, v51, vcc_lo
	v_cmp_gt_i32_e32 vcc_lo, 1, v54
	v_cmp_eq_u32_e64 s4, 3, v66
	v_lshrrev_b32_e32 v49, 2, v49
	v_cmp_lt_i32_e64 s5, 5, v67
	v_and_b32_e32 v68, 7, v51
	v_cndmask_b32_e32 v53, v75, v53, vcc_lo
	v_cmp_gt_i32_e32 vcc_lo, 1, v56
	v_cmp_eq_u32_e64 s6, 3, v67
	v_lshrrev_b32_e32 v51, 2, v51
	v_cmp_lt_i32_e64 s7, 5, v68
	v_and_b32_e32 v69, 7, v53
	v_cndmask_b32_e32 v55, v77, v55, vcc_lo
	v_cmp_gt_i32_e32 vcc_lo, 1, v58
	v_cmp_eq_u32_e64 s8, 3, v68
	v_lshrrev_b32_e32 v53, 2, v53
	v_cmp_lt_i32_e64 s9, 5, v69
	v_and_b32_e32 v70, 7, v55
	v_cndmask_b32_e32 v57, v79, v57, vcc_lo
	v_cmp_gt_i32_e32 vcc_lo, 1, v60
	v_cmp_eq_u32_e64 s10, 3, v69
	v_lshrrev_b32_e32 v55, 2, v55
	v_cmp_lt_i32_e64 s11, 5, v70
	v_and_b32_e32 v71, 7, v57
	v_cndmask_b32_e32 v59, v81, v59, vcc_lo
	v_cmp_gt_i32_e32 vcc_lo, 1, v62
	v_cmp_eq_u32_e64 s12, 3, v70
	v_lshrrev_b32_e32 v57, 2, v57
	v_cmp_lt_i32_e64 s13, 5, v71
	v_and_b32_e32 v72, 7, v59
	v_cndmask_b32_e32 v61, v83, v61, vcc_lo
	v_cmp_lt_i32_e32 vcc_lo, 5, v64
	v_cmp_eq_u32_e64 s14, 3, v71
	v_lshrrev_b32_e32 v59, 2, v59
	v_cmp_lt_i32_e64 s15, 5, v72
	v_cmp_eq_u32_e64 s16, 3, v72
	s_or_b32 vcc_lo, s0, vcc_lo
	v_and_b32_e32 v73, 7, v61
	v_add_co_ci_u32_e32 v11, vcc_lo, 0, v11, vcc_lo
	s_or_b32 vcc_lo, s2, s1
	v_add_co_ci_u32_e32 v15, vcc_lo, 0, v15, vcc_lo
	s_or_b32 vcc_lo, s4, s3
	v_cmp_eq_u32_e64 s0, 3, v73
	v_add_co_ci_u32_e32 v21, vcc_lo, 0, v21, vcc_lo
	s_or_b32 vcc_lo, s6, s5
	v_add_co_ci_u32_e32 v49, vcc_lo, 0, v49, vcc_lo
	s_or_b32 vcc_lo, s8, s7
	;; [unrolled: 2-line block ×6, first 2 shown]
	v_add_co_ci_u32_e32 v59, vcc_lo, 0, v59, vcc_lo
	v_cmp_gt_i32_e32 vcc_lo, 31, v13
	v_cndmask_b32_e32 v11, 0x7c00, v11, vcc_lo
	v_cmp_gt_i32_e32 vcc_lo, 31, v17
	v_cndmask_b32_e32 v15, 0x7c00, v15, vcc_lo
	;; [unrolled: 2-line block ×8, first 2 shown]
	v_cmp_eq_u32_e32 vcc_lo, 0x40f, v13
	v_cndmask_b32_e32 v2, v11, v2, vcc_lo
	v_cmp_eq_u32_e32 vcc_lo, 0x40f, v17
	v_and_or_b32 v2, 0x8000, v3, v2
	v_cndmask_b32_e32 v5, v15, v5, vcc_lo
	v_cmp_eq_u32_e32 vcc_lo, 0x40f, v27
	v_and_b32_e32 v2, 0xffff, v2
	v_and_or_b32 v3, 0x8000, v6, v5
	v_cndmask_b32_e32 v11, v21, v19, vcc_lo
	v_cmp_eq_u32_e32 vcc_lo, 0x40f, v50
	v_lshl_or_b32 v2, v3, 16, v2
	v_and_or_b32 v5, 0x8000, v28, v11
	v_cndmask_b32_e32 v13, v49, v29, vcc_lo
	v_cmp_eq_u32_e32 vcc_lo, 0x40f, v52
	v_and_b32_e32 v5, 0xffff, v5
	v_and_or_b32 v6, 0x8000, v30, v13
	v_cndmask_b32_e32 v15, v51, v31, vcc_lo
	v_cmp_eq_u32_e32 vcc_lo, 0x40f, v54
	v_lshl_or_b32 v3, v6, 16, v5
	v_and_or_b32 v11, 0x8000, v32, v15
	v_cndmask_b32_e32 v17, v53, v33, vcc_lo
	v_cmp_eq_u32_e32 vcc_lo, 0x40f, v56
	global_store_dword v[7:8], v2, off
	global_store_dword v[9:10], v3, off
	v_bfe_u32 v7, v44, 20, 11
	v_and_b32_e32 v11, 0xffff, v11
	v_and_or_b32 v13, 0x8000, v34, v17
	v_cndmask_b32_e32 v19, v55, v35, vcc_lo
	v_cmp_eq_u32_e32 vcc_lo, 0x40f, v58
	v_mul_f64 v[2:3], v[47:48], s[18:19]
	v_lshrrev_b32_e32 v10, 2, v61
	v_lshl_or_b32 v11, v13, 16, v11
	v_and_or_b32 v15, 0x8000, v36, v19
	v_cndmask_b32_e32 v21, v57, v37, vcc_lo
	v_cmp_gt_i32_e32 vcc_lo, 31, v60
	v_sub_nc_u32_e32 v8, 0x3f1, v7
	v_lshrrev_b32_e32 v9, 16, v12
	v_and_b32_e32 v15, 0xffff, v15
	v_and_or_b32 v17, 0x8000, v38, v21
	v_cndmask_b32_e32 v5, 0x7c00, v59, vcc_lo
	v_cmp_eq_u32_e32 vcc_lo, 0x40f, v60
	v_med3_i32 v8, v8, 0, 13
	s_waitcnt vmcnt(5)
	v_mul_f16_sdwa v19, v9, v26 dst_sel:DWORD dst_unused:UNUSED_PAD src0_sel:DWORD src1_sel:WORD_1
	v_lshl_or_b32 v13, v17, 16, v15
	v_and_or_b32 v15, 0xffe, v63, v43
	v_cndmask_b32_e32 v5, v5, v39, vcc_lo
	v_cmp_lt_i32_e32 vcc_lo, 5, v73
	v_lshrrev_b32_e32 v6, 16, v40
	v_fmac_f16_e32 v19, v12, v26
	v_or_b32_e32 v17, 0x1000, v15
	global_store_dword v[23:24], v11, off
	global_store_dword v[45:46], v13, off
	s_or_b32 vcc_lo, s0, vcc_lo
	v_and_or_b32 v2, 0x1ff, v3, v2
	v_add_co_ci_u32_e32 v10, vcc_lo, 0, v10, vcc_lo
	v_cmp_ne_u32_e32 vcc_lo, 0, v41
	v_lshrrev_b32_e32 v27, v8, v17
	v_and_or_b32 v28, 0x8000, v6, v5
	v_cvt_f32_f16_e32 v5, v19
	v_lshrrev_b32_e32 v19, 16, v42
	v_cndmask_b32_e64 v21, 0, 1, vcc_lo
	v_cmp_gt_i32_e32 vcc_lo, 31, v62
	v_lshlrev_b32_e32 v8, v8, v27
	v_cvt_f64_f32_e32 v[5:6], v5
	v_mul_f16_sdwa v12, v12, v26 dst_sel:DWORD dst_unused:UNUSED_PAD src0_sel:DWORD src1_sel:WORD_1
	v_lshl_or_b32 v21, v21, 9, 0x7c00
	v_cndmask_b32_e32 v10, 0x7c00, v10, vcc_lo
	v_cmp_eq_u32_e32 vcc_lo, 0x40f, v62
	v_fma_f16 v9, v26, v9, -v12
	v_cndmask_b32_e32 v10, v10, v21, vcc_lo
	v_cmp_ne_u32_e32 vcc_lo, v8, v17
	v_add_nc_u32_e32 v17, 0xfffffc10, v7
	v_lshrrev_b32_e32 v7, 8, v3
	v_bfe_u32 v21, v3, 20, 11
	v_and_or_b32 v10, 0x8000, v19, v10
	v_cndmask_b32_e64 v8, 0, 1, vcc_lo
	v_cmp_ne_u32_e32 vcc_lo, 0, v2
	v_lshl_or_b32 v19, v17, 12, v15
	v_cvt_f32_f16_e32 v9, v9
	v_or_b32_e32 v8, v27, v8
	v_cndmask_b32_e64 v2, 0, 1, vcc_lo
	v_cmp_gt_i32_e32 vcc_lo, 1, v17
	v_and_b32_e32 v27, 0xffff, v28
	v_mul_f64 v[5:6], v[5:6], s[18:19]
	v_and_or_b32 v2, 0xffe, v7, v2
	v_sub_nc_u32_e32 v7, 0x3f1, v21
	v_cndmask_b32_e32 v19, v19, v8, vcc_lo
	v_lshl_or_b32 v13, v10, 16, v27
	v_or_b32_e32 v28, 0x1000, v2
	v_med3_i32 v29, v7, 0, 13
	v_and_b32_e32 v10, 7, v19
	v_add_co_u32 v7, vcc_lo, v45, s17
	v_add_co_ci_u32_e32 v8, vcc_lo, s20, v46, vcc_lo
	v_lshrrev_b32_e32 v11, v29, v28
	v_cmp_lt_i32_e32 vcc_lo, 5, v10
	v_cmp_eq_u32_e64 s0, 3, v10
	v_lshrrev_b32_e32 v10, 2, v19
	v_add_nc_u32_e32 v19, 0xfffffc10, v21
	v_lshlrev_b32_e32 v23, v29, v11
	global_store_dword v[7:8], v13, off
	s_or_b32 vcc_lo, s0, vcc_lo
	v_and_or_b32 v5, 0x1ff, v6, v5
	v_add_co_ci_u32_e32 v21, vcc_lo, 0, v10, vcc_lo
	v_cmp_ne_u32_e64 s1, v23, v28
	v_cmp_ne_u32_e32 vcc_lo, 0, v15
	v_cvt_f64_f32_e32 v[9:10], v9
	v_lshl_or_b32 v24, v19, 12, v2
	v_bfe_u32 v26, v6, 20, 11
	v_cndmask_b32_e64 v12, 0, 1, s1
	v_or_b32_e32 v23, v11, v12
	ds_read2_b32 v[11:12], v14 offset0:122 offset1:176
	v_cndmask_b32_e64 v14, 0, 1, vcc_lo
	v_cmp_gt_i32_e32 vcc_lo, 1, v19
	v_lshl_or_b32 v14, v14, 9, 0x7c00
	v_cndmask_b32_e32 v15, v24, v23, vcc_lo
	v_cmp_gt_i32_e32 vcc_lo, 31, v17
	v_lshrrev_b32_e32 v24, 8, v6
	v_and_b32_e32 v23, 7, v15
	v_cndmask_b32_e32 v21, 0x7c00, v21, vcc_lo
	v_cmp_ne_u32_e32 vcc_lo, 0, v5
	v_mul_f64 v[9:10], v[9:10], s[18:19]
	v_lshrrev_b32_e32 v15, 2, v15
	v_cmp_eq_u32_e64 s0, 3, v23
	v_cndmask_b32_e64 v5, 0, 1, vcc_lo
	v_cmp_eq_u32_e32 vcc_lo, 0x40f, v17
	v_lshrrev_b32_e32 v17, 16, v44
	v_and_or_b32 v5, 0xffe, v24, v5
	v_cndmask_b32_e32 v14, v21, v14, vcc_lo
	v_cmp_lt_i32_e32 vcc_lo, 5, v23
	v_sub_nc_u32_e32 v21, 0x3f1, v26
	s_waitcnt lgkmcnt(0)
	v_lshrrev_b32_e32 v24, 16, v11
	v_or_b32_e32 v23, 0x1000, v5
	v_and_or_b32 v14, 0x8000, v17, v14
	s_or_b32 vcc_lo, s0, vcc_lo
	v_med3_i32 v21, v21, 0, 13
	v_add_co_ci_u32_e32 v15, vcc_lo, 0, v15, vcc_lo
	v_cmp_ne_u32_e32 vcc_lo, 0, v2
	s_waitcnt vmcnt(4)
	v_mul_f16_sdwa v27, v24, v22 dst_sel:DWORD dst_unused:UNUSED_PAD src0_sel:DWORD src1_sel:WORD_1
	v_lshrrev_b32_e32 v28, v21, v23
	v_and_or_b32 v9, 0x1ff, v10, v9
	v_and_b32_e32 v14, 0xffff, v14
	v_cndmask_b32_e64 v2, 0, 1, vcc_lo
	v_cmp_gt_i32_e32 vcc_lo, 31, v19
	v_fmac_f16_e32 v27, v11, v22
	v_lshlrev_b32_e32 v17, v21, v28
	v_mul_f16_sdwa v11, v11, v22 dst_sel:DWORD dst_unused:UNUSED_PAD src0_sel:DWORD src1_sel:WORD_1
	v_lshl_or_b32 v2, v2, 9, 0x7c00
	v_cndmask_b32_e32 v15, 0x7c00, v15, vcc_lo
	v_cmp_eq_u32_e32 vcc_lo, 0x40f, v19
	v_cvt_f32_f16_e32 v21, v27
	v_lshrrev_b32_e32 v19, 16, v3
	v_fma_f16 v11, v22, v24, -v11
	v_lshrrev_b32_e32 v24, 16, v6
	v_cndmask_b32_e32 v15, v15, v2, vcc_lo
	v_cmp_ne_u32_e32 vcc_lo, v17, v23
	v_cvt_f64_f32_e32 v[2:3], v21
	v_add_nc_u32_e32 v21, 0xfffffc10, v26
	v_lshrrev_b32_e32 v23, 8, v10
	v_bfe_u32 v26, v10, 20, 11
	v_cndmask_b32_e64 v17, 0, 1, vcc_lo
	v_cmp_ne_u32_e32 vcc_lo, 0, v9
	v_and_or_b32 v15, 0x8000, v19, v15
	v_lshl_or_b32 v19, v21, 12, v5
	v_cvt_f32_f16_e32 v11, v11
	v_or_b32_e32 v17, v28, v17
	v_cndmask_b32_e64 v9, 0, 1, vcc_lo
	v_cmp_gt_i32_e32 vcc_lo, 1, v21
	v_lshl_or_b32 v15, v15, 16, v14
	v_add_nc_u32_e32 v22, 0xfffffc10, v26
	v_lshrrev_b32_e32 v10, 16, v10
	v_and_or_b32 v9, 0xffe, v23, v9
	v_sub_nc_u32_e32 v23, 0x3f1, v26
	v_cndmask_b32_e32 v17, v19, v17, vcc_lo
	v_add_co_u32 v7, vcc_lo, v7, s17
	v_or_b32_e32 v19, 0x1000, v9
	v_med3_i32 v23, v23, 0, 13
	v_and_b32_e32 v13, 7, v17
	v_mul_f64 v[2:3], v[2:3], s[18:19]
	v_add_co_ci_u32_e32 v8, vcc_lo, s20, v8, vcc_lo
	v_lshrrev_b32_e32 v27, v23, v19
	v_cmp_lt_i32_e32 vcc_lo, 5, v13
	v_cmp_eq_u32_e64 s0, 3, v13
	v_lshrrev_b32_e32 v17, 2, v17
	global_store_dword v[7:8], v15, off
	v_lshlrev_b32_e32 v14, v23, v27
	s_or_b32 vcc_lo, s0, vcc_lo
	v_cmp_ne_u32_e64 s1, v14, v19
	v_cvt_f64_f32_e32 v[13:14], v11
	v_add_co_ci_u32_e32 v11, vcc_lo, 0, v17, vcc_lo
	v_cmp_ne_u32_e32 vcc_lo, 0, v5
	v_cndmask_b32_e64 v19, 0, 1, s1
	v_cndmask_b32_e64 v5, 0, 1, vcc_lo
	v_cmp_gt_i32_e32 vcc_lo, 31, v21
	v_or_b32_e32 v17, v27, v19
	v_lshl_or_b32 v19, v22, 12, v9
	v_and_or_b32 v2, 0x1ff, v3, v2
	v_lshl_or_b32 v5, v5, 9, 0x7c00
	v_cndmask_b32_e32 v11, 0x7c00, v11, vcc_lo
	v_cmp_gt_i32_e32 vcc_lo, 1, v22
	v_bfe_u32 v23, v3, 20, 11
	v_cndmask_b32_e32 v17, v19, v17, vcc_lo
	v_cmp_ne_u32_e32 vcc_lo, 0, v2
	v_lshrrev_b32_e32 v19, 8, v3
	v_cndmask_b32_e64 v2, 0, 1, vcc_lo
	v_cmp_eq_u32_e32 vcc_lo, 0x40f, v21
	v_and_b32_e32 v21, 7, v17
	v_and_or_b32 v2, 0xffe, v19, v2
	v_cndmask_b32_e32 v11, v11, v5, vcc_lo
	v_cmp_lt_i32_e32 vcc_lo, 5, v21
	v_cmp_eq_u32_e64 s0, 3, v21
	v_mul_f64 v[5:6], v[13:14], s[18:19]
	v_lshrrev_b32_e32 v13, 2, v17
	v_sub_nc_u32_e32 v19, 0x3f1, v23
	v_or_b32_e32 v14, 0x1000, v2
	s_or_b32 vcc_lo, s0, vcc_lo
	v_and_or_b32 v11, 0x8000, v24, v11
	v_add_co_ci_u32_e32 v13, vcc_lo, 0, v13, vcc_lo
	v_med3_i32 v17, v19, 0, 13
	v_cmp_ne_u32_e32 vcc_lo, 0, v9
	v_lshrrev_b32_e32 v19, 16, v12
	v_and_b32_e32 v11, 0xffff, v11
	v_lshrrev_b32_e32 v21, v17, v14
	v_cndmask_b32_e64 v9, 0, 1, vcc_lo
	v_cmp_gt_i32_e32 vcc_lo, 31, v22
	s_waitcnt vmcnt(3)
	v_mul_f16_sdwa v26, v19, v20 dst_sel:DWORD dst_unused:UNUSED_PAD src0_sel:DWORD src1_sel:WORD_1
	v_lshlrev_b32_e32 v17, v17, v21
	v_lshl_or_b32 v9, v9, 9, 0x7c00
	v_cndmask_b32_e32 v13, 0x7c00, v13, vcc_lo
	v_cmp_eq_u32_e32 vcc_lo, 0x40f, v22
	v_and_or_b32 v5, 0x1ff, v6, v5
	v_fmac_f16_e32 v26, v12, v20
	v_add_nc_u32_e32 v22, 0xfffffc10, v23
	v_lshrrev_b32_e32 v23, 8, v6
	v_cndmask_b32_e32 v9, v13, v9, vcc_lo
	v_cmp_ne_u32_e32 vcc_lo, v17, v14
	v_cvt_f32_f16_e32 v13, v26
	v_bfe_u32 v24, v6, 20, 11
	v_mul_f16_sdwa v12, v12, v20 dst_sel:DWORD dst_unused:UNUSED_PAD src0_sel:DWORD src1_sel:WORD_1
	v_and_or_b32 v9, 0x8000, v10, v9
	v_cndmask_b32_e64 v17, 0, 1, vcc_lo
	v_cmp_ne_u32_e32 vcc_lo, 0, v5
	v_cvt_f64_f32_e32 v[13:14], v13
	v_lshrrev_b32_e32 v6, 16, v6
	v_lshl_or_b32 v26, v9, 16, v11
	v_or_b32_e32 v17, v21, v17
	v_cndmask_b32_e64 v5, 0, 1, vcc_lo
	v_lshl_or_b32 v21, v22, 12, v2
	v_cmp_gt_i32_e32 vcc_lo, 1, v22
	v_fma_f16 v11, v20, v19, -v12
	v_and_or_b32 v5, 0xffe, v23, v5
	v_sub_nc_u32_e32 v23, 0x3f1, v24
	v_cndmask_b32_e32 v17, v21, v17, vcc_lo
	v_or_b32_e32 v21, 0x1000, v5
	v_med3_i32 v10, v23, 0, 13
	v_and_b32_e32 v23, 7, v17
	v_lshrrev_b32_e32 v17, 2, v17
	v_lshrrev_b32_e32 v15, v10, v21
	v_cmp_lt_i32_e32 vcc_lo, 5, v23
	v_cmp_eq_u32_e64 s0, 3, v23
	v_lshlrev_b32_e32 v12, v10, v15
	v_mul_f64 v[9:10], v[13:14], s[18:19]
	v_add_nc_u32_e32 v13, 0x600, v25
	s_or_b32 vcc_lo, s0, vcc_lo
	v_cvt_f32_f16_e32 v14, v11
	v_cmp_ne_u32_e64 s1, v12, v21
	v_add_nc_u32_e32 v21, 0xfffffc10, v24
	v_add_co_ci_u32_e32 v17, vcc_lo, 0, v17, vcc_lo
	v_add_co_u32 v7, vcc_lo, v7, s17
	v_cndmask_b32_e64 v19, 0, 1, s1
	ds_read2_b32 v[11:12], v13 offset0:102 offset1:156
	v_add_co_ci_u32_e32 v8, vcc_lo, s20, v8, vcc_lo
	v_cmp_gt_i32_e32 vcc_lo, 1, v21
	v_or_b32_e32 v15, v15, v19
	v_lshl_or_b32 v19, v21, 12, v5
	v_cvt_f64_f32_e32 v[13:14], v14
	global_store_dword v[7:8], v26, off
	v_cndmask_b32_e32 v15, v19, v15, vcc_lo
	v_cmp_gt_i32_e32 vcc_lo, 31, v22
	v_and_or_b32 v9, 0x1ff, v10, v9
	v_lshrrev_b32_e32 v20, 8, v10
	v_bfe_u32 v24, v10, 20, 11
	v_and_b32_e32 v19, 7, v15
	v_cndmask_b32_e32 v17, 0x7c00, v17, vcc_lo
	v_cmp_ne_u32_e32 vcc_lo, 0, v2
	v_lshrrev_b32_e32 v15, 2, v15
	s_waitcnt lgkmcnt(0)
	v_lshrrev_b32_e32 v23, 16, v11
	v_cmp_eq_u32_e64 s0, 3, v19
	v_cndmask_b32_e64 v2, 0, 1, vcc_lo
	v_cmp_ne_u32_e32 vcc_lo, 0, v9
	s_waitcnt vmcnt(2)
	v_mul_f16_sdwa v27, v23, v18 dst_sel:DWORD dst_unused:UNUSED_PAD src0_sel:DWORD src1_sel:WORD_1
	v_lshl_or_b32 v2, v2, 9, 0x7c00
	v_cndmask_b32_e64 v9, 0, 1, vcc_lo
	v_cmp_lt_i32_e32 vcc_lo, 5, v19
	v_mul_f64 v[13:14], v[13:14], s[18:19]
	v_fmac_f16_e32 v27, v11, v18
	v_and_or_b32 v9, 0xffe, v20, v9
	v_sub_nc_u32_e32 v20, 0x3f1, v24
	s_or_b32 vcc_lo, s0, vcc_lo
	v_cvt_f32_f16_e32 v19, v27
	v_add_co_ci_u32_e32 v15, vcc_lo, 0, v15, vcc_lo
	v_or_b32_e32 v28, 0x1000, v9
	v_med3_i32 v29, v20, 0, 13
	v_cmp_eq_u32_e32 vcc_lo, 0x40f, v22
	v_cvt_f64_f32_e32 v[19:20], v19
	v_lshrrev_b32_e32 v22, 16, v3
	v_lshrrev_b32_e32 v27, v29, v28
	v_cndmask_b32_e32 v17, v17, v2, vcc_lo
	v_cmp_gt_i32_e32 vcc_lo, 31, v21
	v_lshlrev_b32_e32 v2, v29, v27
	v_and_or_b32 v17, 0x8000, v22, v17
	v_cndmask_b32_e32 v15, 0x7c00, v15, vcc_lo
	v_cmp_ne_u32_e32 vcc_lo, 0, v5
	v_and_or_b32 v3, 0x1ff, v14, v13
	v_add_nc_u32_e32 v13, 0xfffffc10, v24
	v_lshrrev_b32_e32 v24, 8, v14
	v_and_b32_e32 v17, 0xffff, v17
	v_cndmask_b32_e64 v5, 0, 1, vcc_lo
	v_cmp_ne_u32_e32 vcc_lo, v2, v28
	v_bfe_u32 v28, v14, 20, 11
	v_lshl_or_b32 v29, v13, 12, v9
	v_lshrrev_b32_e32 v14, 16, v14
	v_lshl_or_b32 v5, v5, 9, 0x7c00
	v_cndmask_b32_e64 v2, 0, 1, vcc_lo
	v_cmp_ne_u32_e32 vcc_lo, 0, v3
	v_sub_nc_u32_e32 v30, 0x3f1, v28
	v_or_b32_e32 v27, v27, v2
	v_cndmask_b32_e64 v3, 0, 1, vcc_lo
	v_cmp_eq_u32_e32 vcc_lo, 0x40f, v21
	v_and_or_b32 v24, 0xffe, v24, v3
	v_mul_f64 v[2:3], v[19:20], s[18:19]
	v_cndmask_b32_e32 v5, v15, v5, vcc_lo
	v_cmp_gt_i32_e32 vcc_lo, 1, v13
	v_med3_i32 v19, v30, 0, 13
	v_or_b32_e32 v15, 0x1000, v24
	v_and_or_b32 v26, 0x8000, v6, v5
	v_cndmask_b32_e32 v20, v29, v27, vcc_lo
	v_mul_f16_sdwa v5, v11, v18 dst_sel:DWORD dst_unused:UNUSED_PAD src0_sel:DWORD src1_sel:WORD_1
	v_lshrrev_b32_e32 v21, v19, v15
	v_lshl_or_b32 v17, v26, 16, v17
	v_and_b32_e32 v22, 7, v20
	v_lshrrev_b32_e32 v11, 2, v20
	v_lshlrev_b32_e32 v6, v19, v21
	v_fma_f16 v5, v18, v23, -v5
	v_cmp_lt_i32_e32 vcc_lo, 5, v22
	v_cmp_eq_u32_e64 s0, 3, v22
	v_cmp_ne_u32_e64 s1, v6, v15
	v_cvt_f32_f16_e32 v5, v5
	v_add_nc_u32_e32 v15, 0xfffffc10, v28
	v_and_or_b32 v2, 0x1ff, v3, v2
	s_or_b32 vcc_lo, s0, vcc_lo
	v_cndmask_b32_e64 v6, 0, 1, s1
	v_add_co_ci_u32_e32 v11, vcc_lo, 0, v11, vcc_lo
	v_cmp_ne_u32_e32 vcc_lo, 0, v2
	v_lshl_or_b32 v19, v15, 12, v24
	v_or_b32_e32 v18, v21, v6
	v_cvt_f64_f32_e32 v[5:6], v5
	v_lshrrev_b32_e32 v20, 8, v3
	v_cndmask_b32_e64 v2, 0, 1, vcc_lo
	v_cmp_ne_u32_e32 vcc_lo, 0, v9
	v_bfe_u32 v21, v3, 20, 11
	v_add_co_u32 v7, s1, v7, s17
	v_and_or_b32 v2, 0xffe, v20, v2
	v_cndmask_b32_e64 v9, 0, 1, vcc_lo
	v_cmp_gt_i32_e32 vcc_lo, 1, v15
	v_add_co_ci_u32_e64 v8, s1, s20, v8, s1
	v_or_b32_e32 v22, 0x1000, v2
	v_lshl_or_b32 v9, v9, 9, 0x7c00
	v_cndmask_b32_e32 v18, v19, v18, vcc_lo
	v_cmp_gt_i32_e32 vcc_lo, 31, v13
	v_sub_nc_u32_e32 v19, 0x3f1, v21
	v_add_nc_u32_e32 v21, 0xfffffc10, v21
	v_and_b32_e32 v20, 7, v18
	v_cndmask_b32_e32 v11, 0x7c00, v11, vcc_lo
	v_cmp_eq_u32_e32 vcc_lo, 0x40f, v13
	v_med3_i32 v19, v19, 0, 13
	v_lshrrev_b32_e32 v13, 16, v12
	v_cmp_eq_u32_e64 s0, 3, v20
	v_mul_f64 v[5:6], v[5:6], s[18:19]
	v_cndmask_b32_e32 v11, v11, v9, vcc_lo
	v_cmp_lt_i32_e32 vcc_lo, 5, v20
	v_lshrrev_b32_e32 v20, 16, v10
	v_lshrrev_b32_e32 v10, 2, v18
	;; [unrolled: 1-line block ×3, first 2 shown]
	s_waitcnt vmcnt(1)
	v_mul_f16_sdwa v18, v13, v4 dst_sel:DWORD dst_unused:UNUSED_PAD src0_sel:DWORD src1_sel:WORD_1
	s_or_b32 vcc_lo, s0, vcc_lo
	v_and_or_b32 v11, 0x8000, v20, v11
	v_add_co_ci_u32_e32 v10, vcc_lo, 0, v10, vcc_lo
	v_lshlrev_b32_e32 v19, v19, v9
	v_cmp_ne_u32_e32 vcc_lo, 0, v24
	v_fmac_f16_e32 v18, v12, v4
	v_and_b32_e32 v11, 0xffff, v11
	v_mul_f16_sdwa v24, v12, v4 dst_sel:DWORD dst_unused:UNUSED_PAD src0_sel:DWORD src1_sel:WORD_1
	v_cndmask_b32_e64 v23, 0, 1, vcc_lo
	v_cmp_ne_u32_e32 vcc_lo, v19, v22
	v_cvt_f32_f16_e32 v18, v18
	v_fma_f16 v4, v4, v13, -v24
	v_lshl_or_b32 v23, v23, 9, 0x7c00
	v_cndmask_b32_e64 v19, 0, 1, vcc_lo
	v_cmp_gt_i32_e32 vcc_lo, 31, v15
	v_and_or_b32 v5, 0x1ff, v6, v5
	v_cvt_f32_f16_e32 v4, v4
	v_or_b32_e32 v19, v9, v19
	v_cndmask_b32_e32 v22, 0x7c00, v10, vcc_lo
	v_cmp_eq_u32_e32 vcc_lo, 0x40f, v15
	v_cvt_f64_f32_e32 v[9:10], v18
	v_lshl_or_b32 v18, v21, 12, v2
	v_cndmask_b32_e32 v15, v22, v23, vcc_lo
	v_cmp_gt_i32_e32 vcc_lo, 1, v21
	v_bfe_u32 v22, v6, 20, 11
	v_and_or_b32 v14, 0x8000, v14, v15
	v_cndmask_b32_e32 v18, v18, v19, vcc_lo
	v_cmp_ne_u32_e32 vcc_lo, 0, v5
	v_lshrrev_b32_e32 v19, 8, v6
	v_lshrrev_b32_e32 v6, 16, v6
	v_and_b32_e32 v20, 7, v18
	v_cndmask_b32_e64 v5, 0, 1, vcc_lo
	v_lshrrev_b32_e32 v18, 2, v18
	v_cmp_lt_i32_e32 vcc_lo, 5, v20
	v_and_or_b32 v15, 0xffe, v19, v5
	v_sub_nc_u32_e32 v5, 0x3f1, v22
	v_cmp_eq_u32_e64 s0, 3, v20
	v_mul_f64 v[9:10], v[9:10], s[18:19]
	v_lshl_or_b32 v20, v14, 16, v11
	v_or_b32_e32 v19, 0x1000, v15
	v_med3_i32 v5, v5, 0, 13
	s_or_b32 vcc_lo, s0, vcc_lo
	v_add_co_ci_u32_e32 v11, vcc_lo, 0, v18, vcc_lo
	v_lshrrev_b32_e32 v14, v5, v19
	v_cmp_ne_u32_e32 vcc_lo, 0, v2
	v_add_nc_u32_e32 v18, 0x800, v25
	v_lshlrev_b32_e32 v5, v5, v14
	v_cndmask_b32_e64 v2, 0, 1, vcc_lo
	v_cmp_gt_i32_e32 vcc_lo, 31, v21
	v_lshl_or_b32 v2, v2, 9, 0x7c00
	v_cndmask_b32_e32 v23, 0x7c00, v11, vcc_lo
	v_cmp_ne_u32_e32 vcc_lo, v5, v19
	ds_read2_b32 v[11:12], v18 offset0:82 offset1:136
	v_and_or_b32 v9, 0x1ff, v10, v9
	v_add_nc_u32_e32 v18, 0xfffffc10, v22
	v_lshrrev_b32_e32 v19, 8, v10
	v_cndmask_b32_e64 v5, 0, 1, vcc_lo
	v_cmp_eq_u32_e32 vcc_lo, 0x40f, v21
	v_bfe_u32 v21, v10, 20, 11
	v_lshrrev_b32_e32 v22, 16, v3
	v_lshrrev_b32_e32 v10, 16, v10
	v_cndmask_b32_e32 v13, v23, v2, vcc_lo
	v_cmp_ne_u32_e32 vcc_lo, 0, v9
	v_or_b32_e32 v2, v14, v5
	v_lshl_or_b32 v14, v18, 12, v15
	v_cvt_f64_f32_e32 v[4:5], v4
	v_and_or_b32 v22, 0x8000, v22, v13
	v_cndmask_b32_e64 v9, 0, 1, vcc_lo
	v_cmp_gt_i32_e32 vcc_lo, 1, v18
	v_and_or_b32 v9, 0xffe, v19, v9
	v_cndmask_b32_e32 v14, v14, v2, vcc_lo
	v_sub_nc_u32_e32 v2, 0x3f1, v21
	s_waitcnt lgkmcnt(0)
	v_lshrrev_b32_e32 v19, 16, v11
	v_add_nc_u32_e32 v21, 0xfffffc10, v21
	v_or_b32_e32 v24, 0x1000, v9
	v_and_b32_e32 v23, 7, v14
	v_med3_i32 v25, v2, 0, 13
	s_waitcnt vmcnt(0)
	v_mul_f16_sdwa v26, v19, v16 dst_sel:DWORD dst_unused:UNUSED_PAD src0_sel:DWORD src1_sel:WORD_1
	v_add_co_u32 v2, vcc_lo, v7, s17
	v_add_co_ci_u32_e32 v3, vcc_lo, s20, v8, vcc_lo
	v_lshrrev_b32_e32 v27, v25, v24
	v_fmac_f16_e32 v26, v11, v16
	v_cmp_lt_i32_e32 vcc_lo, 5, v23
	v_cmp_eq_u32_e64 s0, 3, v23
	v_lshrrev_b32_e32 v13, 2, v14
	v_lshlrev_b32_e32 v23, v25, v27
	v_cvt_f32_f16_e32 v14, v26
	v_mul_f64 v[4:5], v[4:5], s[18:19]
	s_or_b32 vcc_lo, s0, vcc_lo
	v_mul_f16_sdwa v11, v11, v16 dst_sel:DWORD dst_unused:UNUSED_PAD src0_sel:DWORD src1_sel:WORD_1
	v_add_co_ci_u32_e32 v25, vcc_lo, 0, v13, vcc_lo
	v_cmp_ne_u32_e32 vcc_lo, v23, v24
	v_cvt_f64_f32_e32 v[13:14], v14
	v_lshl_or_b32 v24, v21, 12, v9
	v_fma_f16 v11, v16, v19, -v11
	v_cndmask_b32_e64 v23, 0, 1, vcc_lo
	v_cmp_ne_u32_e32 vcc_lo, 0, v15
	v_cvt_f32_f16_e32 v11, v11
	v_or_b32_e32 v23, v27, v23
	v_cndmask_b32_e64 v15, 0, 1, vcc_lo
	v_cmp_gt_i32_e32 vcc_lo, 31, v18
	v_lshl_or_b32 v15, v15, 9, 0x7c00
	v_cndmask_b32_e32 v16, 0x7c00, v25, vcc_lo
	v_cmp_gt_i32_e32 vcc_lo, 1, v21
	v_and_or_b32 v4, 0x1ff, v5, v4
	v_cndmask_b32_e32 v19, v24, v23, vcc_lo
	v_cmp_eq_u32_e32 vcc_lo, 0x40f, v18
	v_mul_f64 v[13:14], v[13:14], s[18:19]
	v_lshrrev_b32_e32 v23, 8, v5
	v_bfe_u32 v24, v5, 20, 11
	v_lshrrev_b32_e32 v5, 16, v5
	v_cndmask_b32_e32 v18, v16, v15, vcc_lo
	v_cvt_f64_f32_e32 v[15:16], v11
	v_cmp_ne_u32_e32 vcc_lo, 0, v4
	v_and_b32_e32 v11, 7, v19
	v_and_or_b32 v6, 0x8000, v6, v18
	v_and_b32_e32 v18, 0xffff, v22
	v_cndmask_b32_e64 v4, 0, 1, vcc_lo
	v_cmp_lt_i32_e32 vcc_lo, 5, v11
	v_cmp_eq_u32_e64 s0, 3, v11
	v_lshrrev_b32_e32 v11, 2, v19
	v_sub_nc_u32_e32 v22, 0x3f1, v24
	v_and_or_b32 v4, 0xffe, v23, v4
	v_lshl_or_b32 v6, v6, 16, v18
	s_or_b32 vcc_lo, s0, vcc_lo
	v_add_co_ci_u32_e32 v11, vcc_lo, 0, v11, vcc_lo
	v_or_b32_e32 v18, 0x1000, v4
	v_med3_i32 v19, v22, 0, 13
	v_cmp_ne_u32_e32 vcc_lo, 0, v9
	v_and_or_b32 v13, 0x1ff, v14, v13
	v_lshrrev_b32_e32 v23, 8, v14
	v_mul_f64 v[15:16], v[15:16], s[18:19]
	v_lshrrev_b32_e32 v22, v19, v18
	v_cndmask_b32_e64 v9, 0, 1, vcc_lo
	v_cmp_gt_i32_e32 vcc_lo, 31, v21
	v_bfe_u32 v25, v14, 20, 11
	v_lshlrev_b32_e32 v19, v19, v22
	v_lshl_or_b32 v9, v9, 9, 0x7c00
	v_cndmask_b32_e32 v11, 0x7c00, v11, vcc_lo
	v_cmp_ne_u32_e32 vcc_lo, 0, v13
	v_cndmask_b32_e64 v13, 0, 1, vcc_lo
	v_cmp_ne_u32_e32 vcc_lo, v19, v18
	v_add_nc_u32_e32 v19, 0xfffffc10, v24
	v_and_or_b32 v13, 0xffe, v23, v13
	v_cndmask_b32_e64 v18, 0, 1, vcc_lo
	v_sub_nc_u32_e32 v23, 0x3f1, v25
	v_cmp_eq_u32_e32 vcc_lo, 0x40f, v21
	v_and_or_b32 v15, 0x1ff, v16, v15
	v_or_b32_e32 v21, 0x1000, v13
	v_bfe_u32 v24, v16, 20, 11
	v_cndmask_b32_e32 v9, v11, v9, vcc_lo
	v_or_b32_e32 v11, v22, v18
	v_lshl_or_b32 v18, v19, 12, v4
	v_med3_i32 v22, v23, 0, 13
	v_cmp_gt_i32_e32 vcc_lo, 1, v19
	v_lshrrev_b32_e32 v23, 8, v16
	v_and_or_b32 v9, 0x8000, v10, v9
	v_cndmask_b32_e32 v11, v18, v11, vcc_lo
	v_lshrrev_b32_e32 v18, v22, v21
	v_cmp_ne_u32_e32 vcc_lo, 0, v15
	v_and_b32_e32 v9, 0xffff, v9
	v_and_b32_e32 v26, 7, v11
	v_lshlrev_b32_e32 v22, v22, v18
	v_cndmask_b32_e64 v15, 0, 1, vcc_lo
	v_lshrrev_b32_e32 v11, 2, v11
	v_cmp_lt_i32_e32 vcc_lo, 5, v26
	v_cmp_ne_u32_e64 s0, v22, v21
	v_and_or_b32 v10, 0xffe, v23, v15
	v_sub_nc_u32_e32 v15, 0x3f1, v24
	v_add_nc_u32_e32 v23, 0xfffffc10, v25
	v_cndmask_b32_e64 v21, 0, 1, s0
	v_cmp_eq_u32_e64 s0, 3, v26
	v_or_b32_e32 v22, 0x1000, v10
	v_med3_i32 v15, v15, 0, 13
	v_lshl_or_b32 v25, v23, 12, v13
	v_or_b32_e32 v18, v18, v21
	s_or_b32 vcc_lo, s0, vcc_lo
	v_add_co_ci_u32_e32 v11, vcc_lo, 0, v11, vcc_lo
	v_lshrrev_b32_e32 v21, v15, v22
	v_cmp_gt_i32_e32 vcc_lo, 1, v23
	v_lshlrev_b32_e32 v15, v15, v21
	v_cndmask_b32_e32 v18, v25, v18, vcc_lo
	v_cmp_ne_u32_e32 vcc_lo, 0, v4
	v_cndmask_b32_e64 v4, 0, 1, vcc_lo
	v_cmp_ne_u32_e32 vcc_lo, v15, v22
	v_add_nc_u32_e32 v22, 0xfffffc10, v24
	v_and_b32_e32 v24, 7, v18
	v_lshl_or_b32 v4, v4, 9, 0x7c00
	v_cndmask_b32_e64 v15, 0, 1, vcc_lo
	v_cmp_gt_i32_e32 vcc_lo, 31, v19
	v_cmp_gt_i32_e64 s1, 1, v22
	v_cmp_eq_u32_e64 s0, 3, v24
	v_or_b32_e32 v15, v21, v15
	v_lshl_or_b32 v21, v22, 12, v10
	v_cndmask_b32_e32 v11, 0x7c00, v11, vcc_lo
	v_cmp_lt_i32_e32 vcc_lo, 5, v24
	v_cndmask_b32_e64 v15, v21, v15, s1
	v_cmp_eq_u32_e64 s1, 0x40f, v19
	s_or_b32 vcc_lo, s0, vcc_lo
	v_cndmask_b32_e64 v4, v11, v4, s1
	v_lshrrev_b32_e32 v11, 2, v18
	v_and_b32_e32 v18, 7, v15
	v_lshrrev_b32_e32 v15, 2, v15
	v_cmp_gt_i32_e64 s1, 31, v23
	v_add_co_ci_u32_e32 v11, vcc_lo, 0, v11, vcc_lo
	v_cmp_ne_u32_e32 vcc_lo, 0, v13
	v_cmp_eq_u32_e64 s0, 3, v18
	v_cndmask_b32_e64 v11, 0x7c00, v11, s1
	v_cndmask_b32_e64 v13, 0, 1, vcc_lo
	v_cmp_lt_i32_e32 vcc_lo, 5, v18
	v_lshl_or_b32 v13, v13, 9, 0x7c00
	s_or_b32 vcc_lo, s0, vcc_lo
	v_add_co_ci_u32_e32 v15, vcc_lo, 0, v15, vcc_lo
	v_cmp_ne_u32_e32 vcc_lo, 0, v10
	v_cndmask_b32_e64 v10, 0, 1, vcc_lo
	v_cmp_eq_u32_e32 vcc_lo, 0x40f, v23
	v_lshl_or_b32 v10, v10, 9, 0x7c00
	v_cndmask_b32_e32 v11, v11, v13, vcc_lo
	v_cmp_gt_i32_e32 vcc_lo, 31, v22
	v_lshrrev_b32_e32 v13, 16, v14
	v_cndmask_b32_e32 v14, 0x7c00, v15, vcc_lo
	v_cmp_eq_u32_e32 vcc_lo, 0x40f, v22
	v_and_or_b32 v15, 0x8000, v5, v4
	v_and_or_b32 v11, 0x8000, v13, v11
	v_lshrrev_b32_e32 v13, 16, v16
	v_cndmask_b32_e32 v10, v14, v10, vcc_lo
	v_add_co_u32 v4, vcc_lo, v2, s17
	v_add_co_ci_u32_e32 v5, vcc_lo, s20, v3, vcc_lo
	v_lshl_or_b32 v15, v15, 16, v9
	v_and_or_b32 v13, 0x8000, v13, v10
	v_and_b32_e32 v11, 0xffff, v11
	v_add_co_u32 v9, vcc_lo, v4, s17
	v_add_co_ci_u32_e32 v10, vcc_lo, s20, v5, vcc_lo
	v_lshl_or_b32 v11, v13, 16, v11
	v_add_co_u32 v13, vcc_lo, v9, s17
	v_add_co_ci_u32_e32 v14, vcc_lo, s20, v10, vcc_lo
	global_store_dword v[7:8], v17, off
	global_store_dword v[2:3], v20, off
	;; [unrolled: 1-line block ×5, first 2 shown]
	global_load_dword v0, v[0:1], off offset:544
	v_lshrrev_b32_e32 v1, 16, v12
	s_waitcnt vmcnt(0)
	v_mul_f16_sdwa v2, v1, v0 dst_sel:DWORD dst_unused:UNUSED_PAD src0_sel:DWORD src1_sel:WORD_1
	v_mul_f16_sdwa v3, v12, v0 dst_sel:DWORD dst_unused:UNUSED_PAD src0_sel:DWORD src1_sel:WORD_1
	v_fmac_f16_e32 v2, v12, v0
	v_fma_f16 v0, v0, v1, -v3
	v_cvt_f32_f16_e32 v1, v2
	v_cvt_f32_f16_e32 v2, v0
	v_cvt_f64_f32_e32 v[0:1], v1
	v_cvt_f64_f32_e32 v[2:3], v2
	v_mul_f64 v[0:1], v[0:1], s[18:19]
	v_mul_f64 v[2:3], v[2:3], s[18:19]
	v_and_or_b32 v0, 0x1ff, v1, v0
	v_and_or_b32 v2, 0x1ff, v3, v2
	v_lshrrev_b32_e32 v4, 8, v1
	v_bfe_u32 v5, v1, 20, 11
	v_lshrrev_b32_e32 v6, 8, v3
	v_cmp_ne_u32_e32 vcc_lo, 0, v0
	v_bfe_u32 v7, v3, 20, 11
	v_lshrrev_b32_e32 v1, 16, v1
	v_lshrrev_b32_e32 v3, 16, v3
	v_cndmask_b32_e64 v0, 0, 1, vcc_lo
	v_cmp_ne_u32_e32 vcc_lo, 0, v2
	v_and_or_b32 v0, 0xffe, v4, v0
	v_cndmask_b32_e64 v2, 0, 1, vcc_lo
	v_sub_nc_u32_e32 v4, 0x3f1, v5
	v_add_nc_u32_e32 v5, 0xfffffc10, v5
	v_or_b32_e32 v8, 0x1000, v0
	v_and_or_b32 v2, 0xffe, v6, v2
	v_sub_nc_u32_e32 v6, 0x3f1, v7
	v_med3_i32 v4, v4, 0, 13
	v_add_nc_u32_e32 v7, 0xfffffc10, v7
	v_or_b32_e32 v9, 0x1000, v2
	v_med3_i32 v6, v6, 0, 13
	v_lshrrev_b32_e32 v10, v4, v8
	v_lshrrev_b32_e32 v11, v6, v9
	v_lshlrev_b32_e32 v4, v4, v10
	v_lshlrev_b32_e32 v6, v6, v11
	v_cmp_ne_u32_e32 vcc_lo, v4, v8
	v_lshl_or_b32 v8, v5, 12, v0
	v_cndmask_b32_e64 v4, 0, 1, vcc_lo
	v_cmp_ne_u32_e32 vcc_lo, v6, v9
	v_lshl_or_b32 v9, v7, 12, v2
	v_or_b32_e32 v4, v10, v4
	v_cndmask_b32_e64 v6, 0, 1, vcc_lo
	v_cmp_gt_i32_e32 vcc_lo, 1, v5
	v_or_b32_e32 v6, v11, v6
	v_cndmask_b32_e32 v4, v8, v4, vcc_lo
	v_cmp_gt_i32_e32 vcc_lo, 1, v7
	v_and_b32_e32 v8, 7, v4
	v_cndmask_b32_e32 v6, v9, v6, vcc_lo
	v_lshrrev_b32_e32 v4, 2, v4
	v_cmp_lt_i32_e32 vcc_lo, 5, v8
	v_cmp_eq_u32_e64 s0, 3, v8
	v_and_b32_e32 v9, 7, v6
	v_lshrrev_b32_e32 v6, 2, v6
	s_or_b32 vcc_lo, s0, vcc_lo
	v_cmp_lt_i32_e64 s1, 5, v9
	v_add_co_ci_u32_e32 v4, vcc_lo, 0, v4, vcc_lo
	v_cmp_eq_u32_e64 s2, 3, v9
	v_cmp_ne_u32_e32 vcc_lo, 0, v0
	v_cndmask_b32_e64 v0, 0, 1, vcc_lo
	s_or_b32 vcc_lo, s2, s1
	v_add_co_ci_u32_e32 v6, vcc_lo, 0, v6, vcc_lo
	v_cmp_ne_u32_e32 vcc_lo, 0, v2
	v_lshl_or_b32 v0, v0, 9, 0x7c00
	v_cndmask_b32_e64 v2, 0, 1, vcc_lo
	v_cmp_gt_i32_e32 vcc_lo, 31, v5
	v_lshl_or_b32 v2, v2, 9, 0x7c00
	v_cndmask_b32_e32 v4, 0x7c00, v4, vcc_lo
	v_cmp_gt_i32_e32 vcc_lo, 31, v7
	v_cndmask_b32_e32 v6, 0x7c00, v6, vcc_lo
	v_cmp_eq_u32_e32 vcc_lo, 0x40f, v5
	v_cndmask_b32_e32 v0, v4, v0, vcc_lo
	v_cmp_eq_u32_e32 vcc_lo, 0x40f, v7
	v_and_or_b32 v0, 0x8000, v1, v0
	v_cndmask_b32_e32 v2, v6, v2, vcc_lo
	v_and_b32_e32 v0, 0xffff, v0
	v_and_or_b32 v1, 0x8000, v3, v2
	v_lshl_or_b32 v2, v1, 16, v0
	v_add_co_u32 v0, vcc_lo, v13, s17
	v_add_co_ci_u32_e32 v1, vcc_lo, s20, v14, vcc_lo
	global_store_dword v[0:1], v2, off
.LBB0_15:
	s_endpgm
	.section	.rodata,"a",@progbits
	.p2align	6, 0x0
	.amdhsa_kernel bluestein_single_fwd_len702_dim1_half_op_CI_CI
		.amdhsa_group_segment_fixed_size 2808
		.amdhsa_private_segment_fixed_size 0
		.amdhsa_kernarg_size 104
		.amdhsa_user_sgpr_count 6
		.amdhsa_user_sgpr_private_segment_buffer 1
		.amdhsa_user_sgpr_dispatch_ptr 0
		.amdhsa_user_sgpr_queue_ptr 0
		.amdhsa_user_sgpr_kernarg_segment_ptr 1
		.amdhsa_user_sgpr_dispatch_id 0
		.amdhsa_user_sgpr_flat_scratch_init 0
		.amdhsa_user_sgpr_private_segment_size 0
		.amdhsa_wavefront_size32 1
		.amdhsa_uses_dynamic_stack 0
		.amdhsa_system_sgpr_private_segment_wavefront_offset 0
		.amdhsa_system_sgpr_workgroup_id_x 1
		.amdhsa_system_sgpr_workgroup_id_y 0
		.amdhsa_system_sgpr_workgroup_id_z 0
		.amdhsa_system_sgpr_workgroup_info 0
		.amdhsa_system_vgpr_workitem_id 0
		.amdhsa_next_free_vgpr 136
		.amdhsa_next_free_sgpr 21
		.amdhsa_reserve_vcc 1
		.amdhsa_reserve_flat_scratch 0
		.amdhsa_float_round_mode_32 0
		.amdhsa_float_round_mode_16_64 0
		.amdhsa_float_denorm_mode_32 3
		.amdhsa_float_denorm_mode_16_64 3
		.amdhsa_dx10_clamp 1
		.amdhsa_ieee_mode 1
		.amdhsa_fp16_overflow 0
		.amdhsa_workgroup_processor_mode 1
		.amdhsa_memory_ordered 1
		.amdhsa_forward_progress 0
		.amdhsa_shared_vgpr_count 0
		.amdhsa_exception_fp_ieee_invalid_op 0
		.amdhsa_exception_fp_denorm_src 0
		.amdhsa_exception_fp_ieee_div_zero 0
		.amdhsa_exception_fp_ieee_overflow 0
		.amdhsa_exception_fp_ieee_underflow 0
		.amdhsa_exception_fp_ieee_inexact 0
		.amdhsa_exception_int_div_zero 0
	.end_amdhsa_kernel
	.text
.Lfunc_end0:
	.size	bluestein_single_fwd_len702_dim1_half_op_CI_CI, .Lfunc_end0-bluestein_single_fwd_len702_dim1_half_op_CI_CI
                                        ; -- End function
	.section	.AMDGPU.csdata,"",@progbits
; Kernel info:
; codeLenInByte = 19528
; NumSgprs: 23
; NumVgprs: 136
; ScratchSize: 0
; MemoryBound: 0
; FloatMode: 240
; IeeeMode: 1
; LDSByteSize: 2808 bytes/workgroup (compile time only)
; SGPRBlocks: 2
; VGPRBlocks: 16
; NumSGPRsForWavesPerEU: 23
; NumVGPRsForWavesPerEU: 136
; Occupancy: 7
; WaveLimiterHint : 1
; COMPUTE_PGM_RSRC2:SCRATCH_EN: 0
; COMPUTE_PGM_RSRC2:USER_SGPR: 6
; COMPUTE_PGM_RSRC2:TRAP_HANDLER: 0
; COMPUTE_PGM_RSRC2:TGID_X_EN: 1
; COMPUTE_PGM_RSRC2:TGID_Y_EN: 0
; COMPUTE_PGM_RSRC2:TGID_Z_EN: 0
; COMPUTE_PGM_RSRC2:TIDIG_COMP_CNT: 0
	.text
	.p2alignl 6, 3214868480
	.fill 48, 4, 3214868480
	.type	__hip_cuid_306f7f4539e5daf4,@object ; @__hip_cuid_306f7f4539e5daf4
	.section	.bss,"aw",@nobits
	.globl	__hip_cuid_306f7f4539e5daf4
__hip_cuid_306f7f4539e5daf4:
	.byte	0                               ; 0x0
	.size	__hip_cuid_306f7f4539e5daf4, 1

	.ident	"AMD clang version 19.0.0git (https://github.com/RadeonOpenCompute/llvm-project roc-6.4.0 25133 c7fe45cf4b819c5991fe208aaa96edf142730f1d)"
	.section	".note.GNU-stack","",@progbits
	.addrsig
	.addrsig_sym __hip_cuid_306f7f4539e5daf4
	.amdgpu_metadata
---
amdhsa.kernels:
  - .args:
      - .actual_access:  read_only
        .address_space:  global
        .offset:         0
        .size:           8
        .value_kind:     global_buffer
      - .actual_access:  read_only
        .address_space:  global
        .offset:         8
        .size:           8
        .value_kind:     global_buffer
      - .actual_access:  read_only
        .address_space:  global
        .offset:         16
        .size:           8
        .value_kind:     global_buffer
      - .actual_access:  read_only
        .address_space:  global
        .offset:         24
        .size:           8
        .value_kind:     global_buffer
      - .actual_access:  read_only
        .address_space:  global
        .offset:         32
        .size:           8
        .value_kind:     global_buffer
      - .offset:         40
        .size:           8
        .value_kind:     by_value
      - .address_space:  global
        .offset:         48
        .size:           8
        .value_kind:     global_buffer
      - .address_space:  global
        .offset:         56
        .size:           8
        .value_kind:     global_buffer
      - .address_space:  global
        .offset:         64
        .size:           8
        .value_kind:     global_buffer
      - .address_space:  global
        .offset:         72
        .size:           8
        .value_kind:     global_buffer
      - .offset:         80
        .size:           4
        .value_kind:     by_value
      - .address_space:  global
        .offset:         88
        .size:           8
        .value_kind:     global_buffer
      - .address_space:  global
        .offset:         96
        .size:           8
        .value_kind:     global_buffer
    .group_segment_fixed_size: 2808
    .kernarg_segment_align: 8
    .kernarg_segment_size: 104
    .language:       OpenCL C
    .language_version:
      - 2
      - 0
    .max_flat_workgroup_size: 117
    .name:           bluestein_single_fwd_len702_dim1_half_op_CI_CI
    .private_segment_fixed_size: 0
    .sgpr_count:     23
    .sgpr_spill_count: 0
    .symbol:         bluestein_single_fwd_len702_dim1_half_op_CI_CI.kd
    .uniform_work_group_size: 1
    .uses_dynamic_stack: false
    .vgpr_count:     136
    .vgpr_spill_count: 0
    .wavefront_size: 32
    .workgroup_processor_mode: 1
amdhsa.target:   amdgcn-amd-amdhsa--gfx1030
amdhsa.version:
  - 1
  - 2
...

	.end_amdgpu_metadata
